;; amdgpu-corpus repo=ROCm/rocFFT kind=compiled arch=gfx1201 opt=O3
	.text
	.amdgcn_target "amdgcn-amd-amdhsa--gfx1201"
	.amdhsa_code_object_version 6
	.protected	fft_rtc_back_len1188_factors_6_11_2_3_3_wgs_198_tpt_66_halfLds_dp_op_CI_CI_unitstride_sbrr_C2R_dirReg ; -- Begin function fft_rtc_back_len1188_factors_6_11_2_3_3_wgs_198_tpt_66_halfLds_dp_op_CI_CI_unitstride_sbrr_C2R_dirReg
	.globl	fft_rtc_back_len1188_factors_6_11_2_3_3_wgs_198_tpt_66_halfLds_dp_op_CI_CI_unitstride_sbrr_C2R_dirReg
	.p2align	8
	.type	fft_rtc_back_len1188_factors_6_11_2_3_3_wgs_198_tpt_66_halfLds_dp_op_CI_CI_unitstride_sbrr_C2R_dirReg,@function
fft_rtc_back_len1188_factors_6_11_2_3_3_wgs_198_tpt_66_halfLds_dp_op_CI_CI_unitstride_sbrr_C2R_dirReg: ; @fft_rtc_back_len1188_factors_6_11_2_3_3_wgs_198_tpt_66_halfLds_dp_op_CI_CI_unitstride_sbrr_C2R_dirReg
; %bb.0:
	s_load_b128 s[8:11], s[0:1], 0x0
	v_mul_u32_u24_e32 v1, 0x3e1, v0
	s_clause 0x1
	s_load_b128 s[4:7], s[0:1], 0x58
	s_load_b128 s[12:15], s[0:1], 0x18
	v_mov_b32_e32 v5, 0
	v_lshrrev_b32_e32 v3, 16, v1
	v_mov_b32_e32 v1, 0
	v_mov_b32_e32 v2, 0
	s_delay_alu instid0(VALU_DEP_3) | instskip(NEXT) | instid1(VALU_DEP_2)
	v_mad_co_u64_u32 v[3:4], null, ttmp9, 3, v[3:4]
	v_dual_mov_b32 v4, v5 :: v_dual_mov_b32 v89, v2
	s_delay_alu instid0(VALU_DEP_1) | instskip(NEXT) | instid1(VALU_DEP_3)
	v_dual_mov_b32 v88, v1 :: v_dual_mov_b32 v93, v4
	v_mov_b32_e32 v92, v3
	s_wait_kmcnt 0x0
	v_cmp_lt_u64_e64 s2, s[10:11], 2
	s_delay_alu instid0(VALU_DEP_1)
	s_and_b32 vcc_lo, exec_lo, s2
	s_cbranch_vccnz .LBB0_8
; %bb.1:
	s_load_b64 s[2:3], s[0:1], 0x10
	v_dual_mov_b32 v1, 0 :: v_dual_mov_b32 v8, v4
	v_dual_mov_b32 v2, 0 :: v_dual_mov_b32 v7, v3
	s_add_nc_u64 s[16:17], s[14:15], 8
	s_add_nc_u64 s[18:19], s[12:13], 8
	s_mov_b64 s[20:21], 1
	s_delay_alu instid0(VALU_DEP_1)
	v_dual_mov_b32 v89, v2 :: v_dual_mov_b32 v88, v1
	s_wait_kmcnt 0x0
	s_add_nc_u64 s[22:23], s[2:3], 8
	s_mov_b32 s3, 0
.LBB0_2:                                ; =>This Inner Loop Header: Depth=1
	s_load_b64 s[24:25], s[22:23], 0x0
                                        ; implicit-def: $vgpr92_vgpr93
	s_mov_b32 s2, exec_lo
	s_wait_kmcnt 0x0
	v_or_b32_e32 v6, s25, v8
	s_delay_alu instid0(VALU_DEP_1)
	v_cmpx_ne_u64_e32 0, v[5:6]
	s_wait_alu 0xfffe
	s_xor_b32 s26, exec_lo, s2
	s_cbranch_execz .LBB0_4
; %bb.3:                                ;   in Loop: Header=BB0_2 Depth=1
	s_cvt_f32_u32 s2, s24
	s_cvt_f32_u32 s27, s25
	s_sub_nc_u64 s[30:31], 0, s[24:25]
	s_wait_alu 0xfffe
	s_delay_alu instid0(SALU_CYCLE_1) | instskip(SKIP_1) | instid1(SALU_CYCLE_2)
	s_fmamk_f32 s2, s27, 0x4f800000, s2
	s_wait_alu 0xfffe
	v_s_rcp_f32 s2, s2
	s_delay_alu instid0(TRANS32_DEP_1) | instskip(SKIP_1) | instid1(SALU_CYCLE_2)
	s_mul_f32 s2, s2, 0x5f7ffffc
	s_wait_alu 0xfffe
	s_mul_f32 s27, s2, 0x2f800000
	s_wait_alu 0xfffe
	s_delay_alu instid0(SALU_CYCLE_2) | instskip(SKIP_1) | instid1(SALU_CYCLE_2)
	s_trunc_f32 s27, s27
	s_wait_alu 0xfffe
	s_fmamk_f32 s2, s27, 0xcf800000, s2
	s_cvt_u32_f32 s29, s27
	s_wait_alu 0xfffe
	s_delay_alu instid0(SALU_CYCLE_1) | instskip(SKIP_1) | instid1(SALU_CYCLE_2)
	s_cvt_u32_f32 s28, s2
	s_wait_alu 0xfffe
	s_mul_u64 s[34:35], s[30:31], s[28:29]
	s_wait_alu 0xfffe
	s_mul_hi_u32 s37, s28, s35
	s_mul_i32 s36, s28, s35
	s_mul_hi_u32 s2, s28, s34
	s_mul_i32 s33, s29, s34
	s_wait_alu 0xfffe
	s_add_nc_u64 s[36:37], s[2:3], s[36:37]
	s_mul_hi_u32 s27, s29, s34
	s_mul_hi_u32 s38, s29, s35
	s_add_co_u32 s2, s36, s33
	s_wait_alu 0xfffe
	s_add_co_ci_u32 s2, s37, s27
	s_mul_i32 s34, s29, s35
	s_add_co_ci_u32 s35, s38, 0
	s_wait_alu 0xfffe
	s_add_nc_u64 s[34:35], s[2:3], s[34:35]
	s_wait_alu 0xfffe
	v_add_co_u32 v4, s2, s28, s34
	s_delay_alu instid0(VALU_DEP_1) | instskip(SKIP_1) | instid1(VALU_DEP_1)
	s_cmp_lg_u32 s2, 0
	s_add_co_ci_u32 s29, s29, s35
	v_readfirstlane_b32 s28, v4
	s_wait_alu 0xfffe
	s_delay_alu instid0(VALU_DEP_1)
	s_mul_u64 s[30:31], s[30:31], s[28:29]
	s_wait_alu 0xfffe
	s_mul_hi_u32 s35, s28, s31
	s_mul_i32 s34, s28, s31
	s_mul_hi_u32 s2, s28, s30
	s_mul_i32 s33, s29, s30
	s_wait_alu 0xfffe
	s_add_nc_u64 s[34:35], s[2:3], s[34:35]
	s_mul_hi_u32 s27, s29, s30
	s_mul_hi_u32 s28, s29, s31
	s_wait_alu 0xfffe
	s_add_co_u32 s2, s34, s33
	s_add_co_ci_u32 s2, s35, s27
	s_mul_i32 s30, s29, s31
	s_add_co_ci_u32 s31, s28, 0
	s_wait_alu 0xfffe
	s_add_nc_u64 s[30:31], s[2:3], s[30:31]
	s_wait_alu 0xfffe
	v_add_co_u32 v4, s2, v4, s30
	s_delay_alu instid0(VALU_DEP_1) | instskip(SKIP_1) | instid1(VALU_DEP_1)
	s_cmp_lg_u32 s2, 0
	s_add_co_ci_u32 s2, s29, s31
	v_mul_hi_u32 v6, v7, v4
	s_wait_alu 0xfffe
	v_mad_co_u64_u32 v[9:10], null, v7, s2, 0
	v_mad_co_u64_u32 v[11:12], null, v8, v4, 0
	;; [unrolled: 1-line block ×3, first 2 shown]
	s_delay_alu instid0(VALU_DEP_3) | instskip(SKIP_1) | instid1(VALU_DEP_4)
	v_add_co_u32 v4, vcc_lo, v6, v9
	s_wait_alu 0xfffd
	v_add_co_ci_u32_e32 v6, vcc_lo, 0, v10, vcc_lo
	s_delay_alu instid0(VALU_DEP_2) | instskip(SKIP_1) | instid1(VALU_DEP_2)
	v_add_co_u32 v4, vcc_lo, v4, v11
	s_wait_alu 0xfffd
	v_add_co_ci_u32_e32 v4, vcc_lo, v6, v12, vcc_lo
	s_wait_alu 0xfffd
	v_add_co_ci_u32_e32 v6, vcc_lo, 0, v14, vcc_lo
	s_delay_alu instid0(VALU_DEP_2) | instskip(SKIP_1) | instid1(VALU_DEP_2)
	v_add_co_u32 v4, vcc_lo, v4, v13
	s_wait_alu 0xfffd
	v_add_co_ci_u32_e32 v6, vcc_lo, 0, v6, vcc_lo
	s_delay_alu instid0(VALU_DEP_2) | instskip(SKIP_1) | instid1(VALU_DEP_3)
	v_mul_lo_u32 v11, s25, v4
	v_mad_co_u64_u32 v[9:10], null, s24, v4, 0
	v_mul_lo_u32 v12, s24, v6
	s_delay_alu instid0(VALU_DEP_2) | instskip(NEXT) | instid1(VALU_DEP_2)
	v_sub_co_u32 v9, vcc_lo, v7, v9
	v_add3_u32 v10, v10, v12, v11
	s_delay_alu instid0(VALU_DEP_1) | instskip(SKIP_1) | instid1(VALU_DEP_1)
	v_sub_nc_u32_e32 v11, v8, v10
	s_wait_alu 0xfffd
	v_subrev_co_ci_u32_e64 v11, s2, s25, v11, vcc_lo
	v_add_co_u32 v12, s2, v4, 2
	s_wait_alu 0xf1ff
	v_add_co_ci_u32_e64 v13, s2, 0, v6, s2
	v_sub_co_u32 v14, s2, v9, s24
	v_sub_co_ci_u32_e32 v10, vcc_lo, v8, v10, vcc_lo
	s_wait_alu 0xf1ff
	v_subrev_co_ci_u32_e64 v11, s2, 0, v11, s2
	s_delay_alu instid0(VALU_DEP_3) | instskip(NEXT) | instid1(VALU_DEP_3)
	v_cmp_le_u32_e32 vcc_lo, s24, v14
	v_cmp_eq_u32_e64 s2, s25, v10
	s_wait_alu 0xfffd
	v_cndmask_b32_e64 v14, 0, -1, vcc_lo
	v_cmp_le_u32_e32 vcc_lo, s25, v11
	s_wait_alu 0xfffd
	v_cndmask_b32_e64 v15, 0, -1, vcc_lo
	v_cmp_le_u32_e32 vcc_lo, s24, v9
	;; [unrolled: 3-line block ×3, first 2 shown]
	s_wait_alu 0xfffd
	v_cndmask_b32_e64 v16, 0, -1, vcc_lo
	v_cmp_eq_u32_e32 vcc_lo, s25, v11
	s_wait_alu 0xf1ff
	s_delay_alu instid0(VALU_DEP_2)
	v_cndmask_b32_e64 v9, v16, v9, s2
	s_wait_alu 0xfffd
	v_cndmask_b32_e32 v11, v15, v14, vcc_lo
	v_add_co_u32 v14, vcc_lo, v4, 1
	s_wait_alu 0xfffd
	v_add_co_ci_u32_e32 v15, vcc_lo, 0, v6, vcc_lo
	s_delay_alu instid0(VALU_DEP_3) | instskip(SKIP_1) | instid1(VALU_DEP_2)
	v_cmp_ne_u32_e32 vcc_lo, 0, v11
	s_wait_alu 0xfffd
	v_dual_cndmask_b32 v10, v15, v13 :: v_dual_cndmask_b32 v11, v14, v12
	v_cmp_ne_u32_e32 vcc_lo, 0, v9
	s_wait_alu 0xfffd
	s_delay_alu instid0(VALU_DEP_2)
	v_dual_cndmask_b32 v93, v6, v10 :: v_dual_cndmask_b32 v92, v4, v11
.LBB0_4:                                ;   in Loop: Header=BB0_2 Depth=1
	s_wait_alu 0xfffe
	s_and_not1_saveexec_b32 s2, s26
	s_cbranch_execz .LBB0_6
; %bb.5:                                ;   in Loop: Header=BB0_2 Depth=1
	v_cvt_f32_u32_e32 v4, s24
	s_sub_co_i32 s26, 0, s24
	v_mov_b32_e32 v93, v5
	s_delay_alu instid0(VALU_DEP_2) | instskip(NEXT) | instid1(TRANS32_DEP_1)
	v_rcp_iflag_f32_e32 v4, v4
	v_mul_f32_e32 v4, 0x4f7ffffe, v4
	s_delay_alu instid0(VALU_DEP_1) | instskip(SKIP_1) | instid1(VALU_DEP_1)
	v_cvt_u32_f32_e32 v4, v4
	s_wait_alu 0xfffe
	v_mul_lo_u32 v6, s26, v4
	s_delay_alu instid0(VALU_DEP_1) | instskip(NEXT) | instid1(VALU_DEP_1)
	v_mul_hi_u32 v6, v4, v6
	v_add_nc_u32_e32 v4, v4, v6
	s_delay_alu instid0(VALU_DEP_1) | instskip(NEXT) | instid1(VALU_DEP_1)
	v_mul_hi_u32 v4, v7, v4
	v_mul_lo_u32 v6, v4, s24
	s_delay_alu instid0(VALU_DEP_1) | instskip(NEXT) | instid1(VALU_DEP_1)
	v_sub_nc_u32_e32 v6, v7, v6
	v_subrev_nc_u32_e32 v10, s24, v6
	v_cmp_le_u32_e32 vcc_lo, s24, v6
	s_wait_alu 0xfffd
	s_delay_alu instid0(VALU_DEP_2) | instskip(NEXT) | instid1(VALU_DEP_1)
	v_dual_cndmask_b32 v6, v6, v10 :: v_dual_add_nc_u32 v9, 1, v4
	v_cndmask_b32_e32 v4, v4, v9, vcc_lo
	s_delay_alu instid0(VALU_DEP_2) | instskip(NEXT) | instid1(VALU_DEP_2)
	v_cmp_le_u32_e32 vcc_lo, s24, v6
	v_add_nc_u32_e32 v9, 1, v4
	s_wait_alu 0xfffd
	s_delay_alu instid0(VALU_DEP_1)
	v_cndmask_b32_e32 v92, v4, v9, vcc_lo
.LBB0_6:                                ;   in Loop: Header=BB0_2 Depth=1
	s_wait_alu 0xfffe
	s_or_b32 exec_lo, exec_lo, s2
	v_mul_lo_u32 v4, v93, s24
	s_delay_alu instid0(VALU_DEP_2)
	v_mul_lo_u32 v6, v92, s25
	s_load_b64 s[26:27], s[18:19], 0x0
	v_mad_co_u64_u32 v[9:10], null, v92, s24, 0
	s_load_b64 s[24:25], s[16:17], 0x0
	s_add_nc_u64 s[20:21], s[20:21], 1
	s_add_nc_u64 s[16:17], s[16:17], 8
	s_wait_alu 0xfffe
	v_cmp_ge_u64_e64 s2, s[20:21], s[10:11]
	s_add_nc_u64 s[18:19], s[18:19], 8
	s_add_nc_u64 s[22:23], s[22:23], 8
	v_add3_u32 v4, v10, v6, v4
	v_sub_co_u32 v6, vcc_lo, v7, v9
	s_wait_alu 0xfffd
	s_delay_alu instid0(VALU_DEP_2) | instskip(SKIP_2) | instid1(VALU_DEP_1)
	v_sub_co_ci_u32_e32 v4, vcc_lo, v8, v4, vcc_lo
	s_and_b32 vcc_lo, exec_lo, s2
	s_wait_kmcnt 0x0
	v_mul_lo_u32 v7, s26, v4
	v_mul_lo_u32 v8, s27, v6
	v_mad_co_u64_u32 v[1:2], null, s26, v6, v[1:2]
	v_mul_lo_u32 v4, s24, v4
	v_mul_lo_u32 v9, s25, v6
	v_mad_co_u64_u32 v[88:89], null, s24, v6, v[88:89]
	s_delay_alu instid0(VALU_DEP_4) | instskip(NEXT) | instid1(VALU_DEP_2)
	v_add3_u32 v2, v8, v2, v7
	v_add3_u32 v89, v9, v89, v4
	s_wait_alu 0xfffe
	s_cbranch_vccnz .LBB0_8
; %bb.7:                                ;   in Loop: Header=BB0_2 Depth=1
	v_dual_mov_b32 v7, v92 :: v_dual_mov_b32 v8, v93
	s_branch .LBB0_2
.LBB0_8:
	s_load_b64 s[0:1], s[0:1], 0x28
	v_mul_hi_u32 v4, 0xaaaaaaab, v3
	v_mul_hi_u32 v6, 0x3e0f83f, v0
	s_lshl_b64 s[10:11], s[10:11], 3
                                        ; implicit-def: $vgpr90
	s_wait_alu 0xfffe
	s_add_nc_u64 s[2:3], s[14:15], s[10:11]
	s_delay_alu instid0(VALU_DEP_2) | instskip(NEXT) | instid1(VALU_DEP_1)
	v_lshrrev_b32_e32 v4, 1, v4
	v_lshl_add_u32 v4, v4, 1, v4
	s_delay_alu instid0(VALU_DEP_1) | instskip(SKIP_3) | instid1(VALU_DEP_1)
	v_sub_nc_u32_e32 v3, v3, v4
	s_wait_kmcnt 0x0
	v_cmp_gt_u64_e32 vcc_lo, s[0:1], v[92:93]
	v_cmp_le_u64_e64 s0, s[0:1], v[92:93]
                                        ; implicit-def: $vgpr4_vgpr5
	s_and_saveexec_b32 s1, s0
	s_wait_alu 0xfffe
	s_xor_b32 s0, exec_lo, s1
; %bb.9:
	v_mul_u32_u24_e32 v1, 0x42, v6
	v_mov_b32_e32 v91, 0
                                        ; implicit-def: $vgpr6
	s_delay_alu instid0(VALU_DEP_2) | instskip(NEXT) | instid1(VALU_DEP_1)
	v_sub_nc_u32_e32 v90, v0, v1
                                        ; implicit-def: $vgpr0
                                        ; implicit-def: $vgpr1_vgpr2
	v_dual_mov_b32 v4, v90 :: v_dual_mov_b32 v5, v91
; %bb.10:
	s_wait_alu 0xfffe
	s_or_saveexec_b32 s1, s0
	s_load_b64 s[2:3], s[2:3], 0x0
	v_mul_u32_u24_e32 v3, 0x4a5, v3
	s_delay_alu instid0(VALU_DEP_1)
	v_lshlrev_b32_e32 v98, 4, v3
	s_xor_b32 exec_lo, exec_lo, s1
	s_cbranch_execz .LBB0_14
; %bb.11:
	s_add_nc_u64 s[10:11], s[12:13], s[10:11]
	v_mul_u32_u24_e32 v6, 0x42, v6
	s_load_b64 s[10:11], s[10:11], 0x0
	v_lshlrev_b64_e32 v[1:2], 4, v[1:2]
	v_mov_b32_e32 v91, 0
	s_delay_alu instid0(VALU_DEP_3) | instskip(NEXT) | instid1(VALU_DEP_1)
	v_sub_nc_u32_e32 v90, v0, v6
	v_lshlrev_b32_e32 v78, 4, v90
	s_wait_kmcnt 0x0
	v_mul_lo_u32 v7, s11, v92
	v_mul_lo_u32 v8, s10, v93
	v_mad_co_u64_u32 v[4:5], null, s10, v92, 0
	s_delay_alu instid0(VALU_DEP_1) | instskip(NEXT) | instid1(VALU_DEP_1)
	v_add3_u32 v5, v5, v8, v7
	v_lshlrev_b64_e32 v[4:5], 4, v[4:5]
	s_delay_alu instid0(VALU_DEP_1) | instskip(SKIP_1) | instid1(VALU_DEP_2)
	v_add_co_u32 v0, s0, s4, v4
	s_wait_alu 0xf1ff
	v_add_co_ci_u32_e64 v4, s0, s5, v5, s0
	s_mov_b32 s4, exec_lo
	s_delay_alu instid0(VALU_DEP_2) | instskip(SKIP_1) | instid1(VALU_DEP_2)
	v_add_co_u32 v0, s0, v0, v1
	s_wait_alu 0xf1ff
	v_add_co_ci_u32_e64 v1, s0, v4, v2, s0
	v_add3_u32 v2, 0, v98, v78
	s_delay_alu instid0(VALU_DEP_3) | instskip(SKIP_1) | instid1(VALU_DEP_3)
	v_add_co_u32 v4, s0, v0, v78
	s_wait_alu 0xf1ff
	v_add_co_ci_u32_e64 v5, s0, 0, v1, s0
	s_clause 0x11
	global_load_b128 v[6:9], v[4:5], off
	global_load_b128 v[10:13], v[4:5], off offset:1056
	global_load_b128 v[14:17], v[4:5], off offset:2112
	;; [unrolled: 1-line block ×17, first 2 shown]
	v_dual_mov_b32 v4, v90 :: v_dual_mov_b32 v5, v91
	s_wait_loadcnt 0x11
	ds_store_b128 v2, v[6:9]
	s_wait_loadcnt 0x10
	ds_store_b128 v2, v[10:13] offset:1056
	s_wait_loadcnt 0xf
	ds_store_b128 v2, v[14:17] offset:2112
	;; [unrolled: 2-line block ×17, first 2 shown]
	v_cmpx_eq_u32_e32 0x41, v90
	s_cbranch_execz .LBB0_13
; %bb.12:
	global_load_b128 v[6:9], v[0:1], off offset:19008
	v_mov_b32_e32 v4, 0x41
	v_dual_mov_b32 v5, 0 :: v_dual_mov_b32 v90, 0x41
	s_wait_loadcnt 0x0
	ds_store_b128 v2, v[6:9] offset:17968
.LBB0_13:
	s_wait_alu 0xfffe
	s_or_b32 exec_lo, exec_lo, s4
.LBB0_14:
	s_delay_alu instid0(SALU_CYCLE_1)
	s_or_b32 exec_lo, exec_lo, s1
	v_lshl_add_u32 v96, v3, 4, 0
	v_lshlrev_b32_e32 v0, 4, v90
	global_wb scope:SCOPE_SE
	s_wait_dscnt 0x0
	s_wait_kmcnt 0x0
	s_barrier_signal -1
	s_barrier_wait -1
	global_inv scope:SCOPE_SE
	v_add_nc_u32_e32 v97, v96, v0
	v_sub_nc_u32_e32 v10, v96, v0
	v_lshlrev_b64_e32 v[94:95], 4, v[4:5]
	s_mov_b32 s1, exec_lo
	ds_load_b64 v[6:7], v97
	ds_load_b64 v[8:9], v10 offset:19008
	s_wait_dscnt 0x0
	v_add_f64_e32 v[0:1], v[6:7], v[8:9]
	v_add_f64_e64 v[2:3], v[6:7], -v[8:9]
	v_cmpx_ne_u32_e32 0, v90
	s_wait_alu 0xfffe
	s_xor_b32 s1, exec_lo, s1
	s_cbranch_execz .LBB0_16
; %bb.15:
	v_add_co_u32 v0, s0, s8, v94
	s_wait_alu 0xf1ff
	v_add_co_ci_u32_e64 v1, s0, s9, v95, s0
	v_add_f64_e32 v[13:14], v[6:7], v[8:9]
	v_add_f64_e64 v[8:9], v[6:7], -v[8:9]
	global_load_b128 v[2:5], v[0:1], off offset:18912
	ds_load_b64 v[0:1], v10 offset:19016
	ds_load_b64 v[11:12], v97 offset:8
	s_wait_dscnt 0x0
	v_add_f64_e32 v[6:7], v[0:1], v[11:12]
	v_add_f64_e64 v[0:1], v[11:12], -v[0:1]
	s_wait_loadcnt 0x0
	v_fma_f64 v[11:12], v[8:9], v[4:5], v[13:14]
	v_fma_f64 v[13:14], -v[8:9], v[4:5], v[13:14]
	s_delay_alu instid0(VALU_DEP_3) | instskip(SKIP_1) | instid1(VALU_DEP_4)
	v_fma_f64 v[15:16], v[6:7], v[4:5], -v[0:1]
	v_fma_f64 v[17:18], v[6:7], v[4:5], v[0:1]
	v_fma_f64 v[0:1], -v[6:7], v[2:3], v[11:12]
	s_delay_alu instid0(VALU_DEP_4) | instskip(NEXT) | instid1(VALU_DEP_4)
	v_fma_f64 v[4:5], v[6:7], v[2:3], v[13:14]
	v_fma_f64 v[6:7], v[8:9], v[2:3], v[15:16]
	s_delay_alu instid0(VALU_DEP_4)
	v_fma_f64 v[2:3], v[8:9], v[2:3], v[17:18]
	ds_store_b128 v10, v[4:7] offset:19008
.LBB0_16:
	s_wait_alu 0xfffe
	s_and_not1_saveexec_b32 s0, s1
	s_cbranch_execz .LBB0_18
; %bb.17:
	ds_load_b128 v[4:7], v96 offset:9504
	s_wait_dscnt 0x0
	v_add_f64_e32 v[4:5], v[4:5], v[4:5]
	v_mul_f64_e32 v[6:7], -2.0, v[6:7]
	ds_store_b128 v96, v[4:7] offset:9504
.LBB0_18:
	s_wait_alu 0xfffe
	s_or_b32 exec_lo, exec_lo, s0
	v_mov_b32_e32 v91, 0
	s_add_nc_u64 s[0:1], s[8:9], 0x49e0
	s_mov_b32 s4, 0xe8584caa
	s_mov_b32 s5, 0xbfebb67a
	s_delay_alu instid0(VALU_DEP_1) | instskip(SKIP_1) | instid1(VALU_DEP_1)
	v_lshlrev_b64_e32 v[4:5], 4, v[90:91]
	s_wait_alu 0xfffe
	v_add_co_u32 v23, s0, s0, v4
	s_wait_alu 0xf1ff
	s_delay_alu instid0(VALU_DEP_2)
	v_add_co_ci_u32_e64 v24, s0, s1, v5, s0
	s_mov_b32 s1, 0x3febb67a
	s_mov_b32 s0, s4
	s_clause 0x1
	global_load_b128 v[4:7], v[23:24], off offset:1056
	global_load_b128 v[11:14], v[23:24], off offset:2112
	ds_store_b128 v97, v[0:3]
	ds_load_b128 v[0:3], v97 offset:1056
	ds_load_b128 v[15:18], v10 offset:17952
	global_load_b128 v[19:22], v[23:24], off offset:3168
	s_wait_dscnt 0x0
	v_add_f64_e32 v[8:9], v[0:1], v[15:16]
	v_add_f64_e32 v[25:26], v[17:18], v[2:3]
	v_add_f64_e64 v[15:16], v[0:1], -v[15:16]
	v_add_f64_e64 v[0:1], v[2:3], -v[17:18]
	s_wait_loadcnt 0x2
	s_delay_alu instid0(VALU_DEP_2) | instskip(NEXT) | instid1(VALU_DEP_2)
	v_fma_f64 v[2:3], v[15:16], v[6:7], v[8:9]
	v_fma_f64 v[17:18], v[25:26], v[6:7], v[0:1]
	v_fma_f64 v[8:9], -v[15:16], v[6:7], v[8:9]
	v_fma_f64 v[27:28], v[25:26], v[6:7], -v[0:1]
	s_delay_alu instid0(VALU_DEP_4) | instskip(NEXT) | instid1(VALU_DEP_4)
	v_fma_f64 v[0:1], -v[25:26], v[4:5], v[2:3]
	v_fma_f64 v[2:3], v[15:16], v[4:5], v[17:18]
	s_delay_alu instid0(VALU_DEP_4) | instskip(NEXT) | instid1(VALU_DEP_4)
	v_fma_f64 v[6:7], v[25:26], v[4:5], v[8:9]
	v_fma_f64 v[8:9], v[15:16], v[4:5], v[27:28]
	ds_store_b128 v97, v[0:3] offset:1056
	ds_store_b128 v10, v[6:9] offset:17952
	ds_load_b128 v[0:3], v97 offset:2112
	ds_load_b128 v[4:7], v10 offset:16896
	global_load_b128 v[15:18], v[23:24], off offset:4224
	s_wait_dscnt 0x0
	v_add_f64_e32 v[8:9], v[0:1], v[4:5]
	v_add_f64_e32 v[25:26], v[6:7], v[2:3]
	v_add_f64_e64 v[27:28], v[0:1], -v[4:5]
	v_add_f64_e64 v[0:1], v[2:3], -v[6:7]
	s_wait_loadcnt 0x2
	s_delay_alu instid0(VALU_DEP_2) | instskip(NEXT) | instid1(VALU_DEP_2)
	v_fma_f64 v[2:3], v[27:28], v[13:14], v[8:9]
	v_fma_f64 v[4:5], v[25:26], v[13:14], v[0:1]
	v_fma_f64 v[6:7], -v[27:28], v[13:14], v[8:9]
	v_fma_f64 v[8:9], v[25:26], v[13:14], -v[0:1]
	s_delay_alu instid0(VALU_DEP_4) | instskip(NEXT) | instid1(VALU_DEP_4)
	v_fma_f64 v[0:1], -v[25:26], v[11:12], v[2:3]
	v_fma_f64 v[2:3], v[27:28], v[11:12], v[4:5]
	s_delay_alu instid0(VALU_DEP_4) | instskip(NEXT) | instid1(VALU_DEP_4)
	v_fma_f64 v[4:5], v[25:26], v[11:12], v[6:7]
	v_fma_f64 v[6:7], v[27:28], v[11:12], v[8:9]
	ds_store_b128 v97, v[0:3] offset:2112
	ds_store_b128 v10, v[4:7] offset:16896
	;; [unrolled: 22-line block ×6, first 2 shown]
	ds_load_b128 v[0:3], v97 offset:7392
	ds_load_b128 v[4:7], v10 offset:11616
	s_wait_dscnt 0x0
	v_add_f64_e32 v[8:9], v[0:1], v[4:5]
	v_add_f64_e32 v[19:20], v[6:7], v[2:3]
	v_add_f64_e64 v[21:22], v[0:1], -v[4:5]
	v_add_f64_e64 v[0:1], v[2:3], -v[6:7]
	s_wait_loadcnt 0x1
	s_delay_alu instid0(VALU_DEP_2) | instskip(NEXT) | instid1(VALU_DEP_2)
	v_fma_f64 v[2:3], v[21:22], v[17:18], v[8:9]
	v_fma_f64 v[4:5], v[19:20], v[17:18], v[0:1]
	v_fma_f64 v[6:7], -v[21:22], v[17:18], v[8:9]
	v_fma_f64 v[8:9], v[19:20], v[17:18], -v[0:1]
	s_delay_alu instid0(VALU_DEP_4) | instskip(NEXT) | instid1(VALU_DEP_4)
	v_fma_f64 v[0:1], -v[19:20], v[15:16], v[2:3]
	v_fma_f64 v[2:3], v[21:22], v[15:16], v[4:5]
	s_delay_alu instid0(VALU_DEP_4) | instskip(NEXT) | instid1(VALU_DEP_4)
	v_fma_f64 v[4:5], v[19:20], v[15:16], v[6:7]
	v_fma_f64 v[6:7], v[21:22], v[15:16], v[8:9]
	ds_store_b128 v97, v[0:3] offset:7392
	ds_store_b128 v10, v[4:7] offset:11616
	ds_load_b128 v[0:3], v97 offset:8448
	ds_load_b128 v[4:7], v10 offset:10560
	s_wait_dscnt 0x0
	v_add_f64_e32 v[8:9], v[0:1], v[4:5]
	v_add_f64_e32 v[15:16], v[6:7], v[2:3]
	v_add_f64_e64 v[17:18], v[0:1], -v[4:5]
	v_add_f64_e64 v[0:1], v[2:3], -v[6:7]
	s_wait_loadcnt 0x0
	s_delay_alu instid0(VALU_DEP_2) | instskip(NEXT) | instid1(VALU_DEP_2)
	v_fma_f64 v[2:3], v[17:18], v[13:14], v[8:9]
	v_fma_f64 v[4:5], v[15:16], v[13:14], v[0:1]
	v_fma_f64 v[6:7], -v[17:18], v[13:14], v[8:9]
	v_fma_f64 v[8:9], v[15:16], v[13:14], -v[0:1]
	s_delay_alu instid0(VALU_DEP_4) | instskip(NEXT) | instid1(VALU_DEP_4)
	v_fma_f64 v[0:1], -v[15:16], v[11:12], v[2:3]
	v_fma_f64 v[2:3], v[17:18], v[11:12], v[4:5]
	s_delay_alu instid0(VALU_DEP_4) | instskip(NEXT) | instid1(VALU_DEP_4)
	v_fma_f64 v[4:5], v[15:16], v[11:12], v[6:7]
	v_fma_f64 v[6:7], v[17:18], v[11:12], v[8:9]
	v_lshl_add_u32 v8, v90, 4, 0
	ds_store_b128 v97, v[0:3] offset:8448
	ds_store_b128 v10, v[4:7] offset:10560
	v_add_nc_u32_e32 v91, v8, v98
	global_wb scope:SCOPE_SE
	s_wait_dscnt 0x0
	s_barrier_signal -1
	s_barrier_wait -1
	global_inv scope:SCOPE_SE
	global_wb scope:SCOPE_SE
	s_barrier_signal -1
	s_barrier_wait -1
	global_inv scope:SCOPE_SE
	ds_load_b128 v[0:3], v91 offset:9504
	ds_load_b128 v[4:7], v91 offset:15840
	;; [unrolled: 1-line block ×12, first 2 shown]
	s_wait_dscnt 0xa
	v_add_f64_e32 v[48:49], v[2:3], v[6:7]
	v_add_f64_e32 v[68:69], v[0:1], v[4:5]
	s_wait_dscnt 0x8
	v_add_f64_e32 v[50:51], v[14:15], v[10:11]
	v_add_f64_e64 v[72:73], v[0:1], -v[4:5]
	s_wait_dscnt 0x6
	v_add_f64_e32 v[56:57], v[18:19], v[22:23]
	v_add_f64_e32 v[76:77], v[12:13], v[8:9]
	v_add_f64_e64 v[78:79], v[12:13], -v[8:9]
	v_add_f64_e32 v[82:83], v[16:17], v[20:21]
	v_add_f64_e64 v[84:85], v[16:17], -v[20:21]
	v_add_f64_e64 v[103:104], v[2:3], -v[6:7]
	;; [unrolled: 1-line block ×3, first 2 shown]
	s_wait_dscnt 0x4
	v_add_f64_e32 v[115:116], v[24:25], v[28:29]
	v_add_f64_e32 v[117:118], v[26:27], v[30:31]
	v_add_f64_e64 v[119:120], v[18:19], -v[22:23]
	s_wait_dscnt 0x3
	v_add_f64_e32 v[0:1], v[32:33], v[0:1]
	v_add_f64_e32 v[2:3], v[34:35], v[2:3]
	s_wait_dscnt 0x1
	v_add_f64_e32 v[16:17], v[40:41], v[16:17]
	v_add_f64_e32 v[18:19], v[42:43], v[18:19]
	;; [unrolled: 1-line block ×4, first 2 shown]
	v_fma_f64 v[74:75], v[48:49], -0.5, v[34:35]
	v_fma_f64 v[105:106], v[68:69], -0.5, v[32:33]
	;; [unrolled: 1-line block ×3, first 2 shown]
	ds_load_b128 v[48:51], v91 offset:12672
	ds_load_b128 v[52:55], v91 offset:6336
	v_fma_f64 v[86:87], v[56:57], -0.5, v[42:43]
	ds_load_b128 v[56:59], v91 offset:7392
	ds_load_b128 v[60:63], v91 offset:13728
	ds_load_b128 v[64:67], v97
	v_fma_f64 v[76:77], v[76:77], -0.5, v[36:37]
	v_fma_f64 v[82:83], v[82:83], -0.5, v[40:41]
	ds_load_b128 v[68:71], v91 offset:1056
	s_wait_dscnt 0x6
	v_add_f64_e32 v[36:37], v[44:45], v[24:25]
	v_add_f64_e32 v[38:39], v[46:47], v[26:27]
	v_add_f64_e64 v[26:27], v[26:27], -v[30:31]
	v_add_f64_e64 v[24:25], v[24:25], -v[28:29]
	v_fma_f64 v[44:45], v[115:116], -0.5, v[44:45]
	v_fma_f64 v[46:47], v[117:118], -0.5, v[46:47]
	v_add_f64_e32 v[0:1], v[0:1], v[4:5]
	v_add_f64_e32 v[2:3], v[2:3], v[6:7]
	v_add_f64_e32 v[16:17], v[16:17], v[20:21]
	v_add_f64_e32 v[18:19], v[18:19], v[22:23]
	v_add_f64_e32 v[8:9], v[12:13], v[8:9]
	v_add_f64_e32 v[10:11], v[14:15], v[10:11]
	global_wb scope:SCOPE_SE
	s_wait_dscnt 0x0
	s_barrier_signal -1
	v_add_f64_e32 v[99:100], v[52:53], v[48:49]
	v_add_f64_e32 v[101:102], v[54:55], v[50:51]
	;; [unrolled: 1-line block ×4, first 2 shown]
	v_add_f64_e64 v[54:55], v[54:55], -v[50:51]
	v_add_f64_e32 v[32:33], v[68:69], v[56:57]
	v_add_f64_e32 v[34:35], v[70:71], v[58:59]
	v_add_f64_e64 v[58:59], v[58:59], -v[62:63]
	s_barrier_wait -1
	global_inv scope:SCOPE_SE
	s_wait_alu 0xfffe
	v_fma_f64 v[107:108], v[72:73], s[0:1], v[74:75]
	v_fma_f64 v[72:73], v[72:73], s[4:5], v[74:75]
	v_add_f64_e32 v[74:75], v[56:57], v[60:61]
	v_fma_f64 v[113:114], v[78:79], s[0:1], v[80:81]
	v_fma_f64 v[78:79], v[78:79], s[4:5], v[80:81]
	;; [unrolled: 1-line block ×4, first 2 shown]
	v_add_f64_e32 v[80:81], v[64:65], v[52:53]
	v_add_f64_e64 v[52:53], v[52:53], -v[48:49]
	v_add_f64_e64 v[56:57], v[56:57], -v[60:61]
	v_add_f64_e32 v[12:13], v[36:37], v[28:29]
	v_add_f64_e32 v[14:15], v[38:39], v[30:31]
	v_fma_f64 v[40:41], v[99:100], -0.5, v[64:65]
	v_fma_f64 v[42:43], v[101:102], -0.5, v[66:67]
	v_fma_f64 v[64:65], v[103:104], s[4:5], v[105:106]
	v_fma_f64 v[66:67], v[103:104], s[0:1], v[105:106]
	v_fma_f64 v[70:71], v[109:110], -0.5, v[70:71]
	v_fma_f64 v[109:110], v[119:120], s[4:5], v[82:83]
	v_fma_f64 v[82:83], v[119:120], s[0:1], v[82:83]
	v_add_f64_e32 v[50:51], v[121:122], v[50:51]
	v_add_f64_e32 v[4:5], v[32:33], v[60:61]
	;; [unrolled: 1-line block ×3, first 2 shown]
	v_mul_f64_e32 v[86:87], s[4:5], v[107:108]
	v_mul_f64_e32 v[101:102], 0.5, v[107:108]
	v_mul_f64_e32 v[99:100], s[4:5], v[72:73]
	v_mul_f64_e32 v[72:73], -0.5, v[72:73]
	v_fma_f64 v[68:69], v[74:75], -0.5, v[68:69]
	v_fma_f64 v[74:75], v[111:112], s[4:5], v[76:77]
	v_mul_f64_e32 v[103:104], s[4:5], v[113:114]
	v_mul_f64_e32 v[107:108], 0.5, v[113:114]
	v_fma_f64 v[76:77], v[111:112], s[0:1], v[76:77]
	v_mul_f64_e32 v[105:106], s[4:5], v[78:79]
	v_mul_f64_e32 v[78:79], -0.5, v[78:79]
	v_mul_f64_e32 v[111:112], s[4:5], v[123:124]
	v_mul_f64_e32 v[115:116], 0.5, v[123:124]
	v_mul_f64_e32 v[113:114], s[4:5], v[84:85]
	v_mul_f64_e32 v[84:85], -0.5, v[84:85]
	v_add_f64_e32 v[48:49], v[80:81], v[48:49]
	v_fma_f64 v[20:21], v[54:55], s[4:5], v[40:41]
	v_fma_f64 v[22:23], v[54:55], s[0:1], v[40:41]
	;; [unrolled: 1-line block ×4, first 2 shown]
	v_add_f64_e32 v[30:31], v[50:51], v[2:3]
	v_add_f64_e64 v[34:35], v[50:51], -v[2:3]
	v_add_f64_e32 v[36:37], v[4:5], v[8:9]
	v_add_f64_e32 v[38:39], v[6:7], v[10:11]
	v_add_f64_e64 v[40:41], v[4:5], -v[8:9]
	v_add_f64_e64 v[42:43], v[6:7], -v[10:11]
	v_add_f64_e32 v[4:5], v[12:13], v[16:17]
	v_add_f64_e32 v[6:7], v[14:15], v[18:19]
	v_fma_f64 v[52:53], v[64:65], 0.5, v[86:87]
	v_fma_f64 v[64:65], v[64:65], s[0:1], v[101:102]
	v_fma_f64 v[62:63], v[66:67], -0.5, v[99:100]
	v_fma_f64 v[66:67], v[66:67], s[0:1], v[72:73]
	v_fma_f64 v[72:73], v[58:59], s[4:5], v[68:69]
	;; [unrolled: 1-line block ×4, first 2 shown]
	v_fma_f64 v[68:69], v[74:75], 0.5, v[103:104]
	v_fma_f64 v[74:75], v[74:75], s[0:1], v[107:108]
	v_fma_f64 v[99:100], v[56:57], s[4:5], v[70:71]
	v_fma_f64 v[70:71], v[76:77], -0.5, v[105:106]
	v_fma_f64 v[76:77], v[76:77], s[0:1], v[78:79]
	v_fma_f64 v[78:79], v[26:27], s[4:5], v[44:45]
	;; [unrolled: 1-line block ×4, first 2 shown]
	v_fma_f64 v[24:25], v[109:110], 0.5, v[111:112]
	v_fma_f64 v[107:108], v[109:110], s[0:1], v[115:116]
	v_fma_f64 v[26:27], v[26:27], s[0:1], v[44:45]
	v_fma_f64 v[105:106], v[82:83], -0.5, v[113:114]
	v_fma_f64 v[82:83], v[82:83], s[0:1], v[84:85]
	v_add_f64_e32 v[28:29], v[48:49], v[0:1]
	v_add_f64_e64 v[32:33], v[48:49], -v[0:1]
	v_add_f64_e64 v[12:13], v[12:13], -v[16:17]
	;; [unrolled: 1-line block ×3, first 2 shown]
	v_cmp_gt_u32_e64 s0, 42, v90
	v_add_f64_e32 v[44:45], v[20:21], v[52:53]
	v_add_f64_e32 v[46:47], v[54:55], v[64:65]
	v_add_f64_e32 v[48:49], v[22:23], v[62:63]
	v_add_f64_e32 v[50:51], v[60:61], v[66:67]
	v_add_f64_e64 v[52:53], v[20:21], -v[52:53]
	v_add_f64_e64 v[54:55], v[54:55], -v[64:65]
	v_add_f64_e64 v[56:57], v[22:23], -v[62:63]
	v_add_f64_e64 v[58:59], v[60:61], -v[66:67]
	v_add_f64_e32 v[60:61], v[72:73], v[68:69]
	v_add_f64_e32 v[62:63], v[86:87], v[74:75]
	v_add_f64_e32 v[64:65], v[80:81], v[70:71]
	v_add_f64_e32 v[66:67], v[99:100], v[76:77]
	v_add_f64_e64 v[68:69], v[72:73], -v[68:69]
	v_add_f64_e64 v[0:1], v[80:81], -v[70:71]
	v_add_f64_e64 v[70:71], v[86:87], -v[74:75]
	v_add_f64_e64 v[2:3], v[99:100], -v[76:77]
	;; [unrolled: 8-line block ×3, first 2 shown]
	v_mul_u32_u24_e32 v72, 6, v90
	s_delay_alu instid0(VALU_DEP_1) | instskip(NEXT) | instid1(VALU_DEP_1)
	v_lshlrev_b32_e32 v72, 4, v72
	v_add3_u32 v72, 0, v72, v98
	ds_store_b128 v72, v[28:31]
	ds_store_b128 v72, v[44:47] offset:16
	ds_store_b128 v72, v[48:51] offset:32
	;; [unrolled: 1-line block ×17, first 2 shown]
	global_wb scope:SCOPE_SE
	s_wait_dscnt 0x0
	s_barrier_signal -1
	s_barrier_wait -1
	global_inv scope:SCOPE_SE
	ds_load_b128 v[44:47], v97
	ds_load_b128 v[84:87], v91 offset:1728
	ds_load_b128 v[76:79], v91 offset:3456
	;; [unrolled: 1-line block ×10, first 2 shown]
                                        ; implicit-def: $vgpr42_vgpr43
                                        ; implicit-def: $vgpr38_vgpr39
                                        ; implicit-def: $vgpr34_vgpr35
                                        ; implicit-def: $vgpr30_vgpr31
	s_and_saveexec_b32 s1, s0
	s_cbranch_execz .LBB0_20
; %bb.19:
	ds_load_b128 v[0:3], v91 offset:1056
	ds_load_b128 v[4:7], v91 offset:2784
	;; [unrolled: 1-line block ×11, first 2 shown]
.LBB0_20:
	s_wait_alu 0xfffe
	s_or_b32 exec_lo, exec_lo, s1
	v_and_b32_e32 v99, 0xff, v90
	s_mov_b32 s18, 0xf8bb580b
	s_mov_b32 s4, 0x8764f0ba
	;; [unrolled: 1-line block ×4, first 2 shown]
	v_mul_lo_u16 v99, 0xab, v99
	s_mov_b32 s19, 0xbfe14ced
	s_mov_b32 s5, 0x3feaeb8c
	;; [unrolled: 1-line block ×4, first 2 shown]
	v_lshrrev_b16 v99, 10, v99
	s_mov_b32 s26, 0x43842ef
	s_mov_b32 s16, 0x640f44db
	;; [unrolled: 1-line block ×4, first 2 shown]
	v_mul_lo_u16 v100, v99, 6
	s_mov_b32 s28, 0xbb3a28a1
	s_mov_b32 s14, 0x7f775887
	;; [unrolled: 1-line block ×4, first 2 shown]
	v_sub_nc_u16 v100, v90, v100
	s_mov_b32 s30, 0xfd768dbf
	s_mov_b32 s12, 0x9bcd5057
	;; [unrolled: 1-line block ×4, first 2 shown]
	v_and_b32_e32 v100, 0xff, v100
	s_mov_b32 s23, 0x3fe14ced
	s_mov_b32 s25, 0x3fed1bb4
	;; [unrolled: 1-line block ×4, first 2 shown]
	v_mul_u32_u24_e32 v101, 10, v100
	s_mov_b32 s22, s18
	s_wait_alu 0xfffe
	s_mov_b32 s24, s20
	s_mov_b32 s34, s26
	s_mov_b32 s36, s30
	v_lshlrev_b32_e32 v137, 4, v101
	s_mov_b32 s39, 0x3fe82f19
	s_mov_b32 s38, s28
	s_clause 0x9
	global_load_b128 v[101:104], v137, s[8:9]
	global_load_b128 v[105:108], v137, s[8:9] offset:144
	global_load_b128 v[109:112], v137, s[8:9] offset:16
	;; [unrolled: 1-line block ×9, first 2 shown]
	global_wb scope:SCOPE_SE
	s_wait_loadcnt_dscnt 0x0
	s_barrier_signal -1
	s_barrier_wait -1
	global_inv scope:SCOPE_SE
	v_mul_f64_e32 v[141:142], v[86:87], v[103:104]
	v_mul_f64_e32 v[103:104], v[84:85], v[103:104]
	;; [unrolled: 1-line block ×13, first 2 shown]
	v_fma_f64 v[84:85], v[84:85], v[101:102], v[141:142]
	v_fma_f64 v[86:87], v[86:87], v[101:102], -v[103:104]
	v_mul_f64_e32 v[101:102], v[82:83], v[107:108]
	v_mul_f64_e32 v[103:104], v[64:65], v[119:120]
	v_mul_f64_e32 v[107:108], v[68:69], v[123:124]
	v_mul_f64_e32 v[119:120], v[66:67], v[119:120]
	v_mul_f64_e32 v[123:124], v[70:71], v[123:124]
	v_fma_f64 v[82:83], v[82:83], v[105:106], -v[143:144]
	v_fma_f64 v[143:144], v[78:79], v[109:110], -v[145:146]
	v_fma_f64 v[76:77], v[76:77], v[109:110], v[111:112]
	v_mul_f64_e32 v[141:142], v[62:63], v[127:128]
	v_mul_f64_e32 v[127:128], v[60:61], v[127:128]
	v_fma_f64 v[78:79], v[74:75], v[113:114], -v[147:148]
	v_fma_f64 v[50:51], v[50:51], v[137:138], -v[139:140]
	v_fma_f64 v[56:57], v[56:57], v[133:134], v[135:136]
	v_fma_f64 v[48:49], v[48:49], v[137:138], v[153:154]
	v_add_f64_e32 v[109:110], v[44:45], v[84:85]
	v_add_f64_e32 v[111:112], v[46:47], v[86:87]
	v_fma_f64 v[74:75], v[80:81], v[105:106], v[101:102]
	v_fma_f64 v[80:81], v[66:67], v[117:118], -v[103:104]
	v_fma_f64 v[70:71], v[70:71], v[121:122], -v[107:108]
	v_fma_f64 v[66:67], v[72:73], v[113:114], v[115:116]
	v_fma_f64 v[64:65], v[64:65], v[117:118], v[119:120]
	;; [unrolled: 1-line block ×4, first 2 shown]
	v_fma_f64 v[68:69], v[54:55], v[129:130], -v[131:132]
	v_fma_f64 v[54:55], v[58:59], v[133:134], -v[151:152]
	v_add_f64_e64 v[58:59], v[86:87], -v[82:83]
	v_add_f64_e32 v[86:87], v[86:87], v[82:83]
	v_fma_f64 v[60:61], v[60:61], v[125:126], v[141:142]
	v_fma_f64 v[62:63], v[62:63], v[125:126], -v[127:128]
	v_add_f64_e64 v[101:102], v[143:144], -v[78:79]
	v_add_f64_e32 v[107:108], v[143:144], v[78:79]
	v_add_f64_e32 v[103:104], v[109:110], v[76:77]
	;; [unrolled: 1-line block ×4, first 2 shown]
	v_add_f64_e64 v[84:85], v[84:85], -v[74:75]
	v_add_f64_e64 v[109:110], v[80:81], -v[70:71]
	v_add_f64_e32 v[115:116], v[80:81], v[70:71]
	v_add_f64_e32 v[113:114], v[76:77], v[66:67]
	v_add_f64_e64 v[76:77], v[76:77], -v[66:67]
	v_add_f64_e32 v[117:118], v[64:65], v[52:53]
	v_add_f64_e64 v[119:120], v[64:65], -v[52:53]
	v_add_f64_e32 v[129:130], v[68:69], v[50:51]
	v_mul_f64_e32 v[137:138], s[18:19], v[58:59]
	v_mul_f64_e32 v[139:140], s[4:5], v[86:87]
	v_mul_f64_e32 v[141:142], s[20:21], v[58:59]
	v_mul_f64_e32 v[143:144], s[10:11], v[86:87]
	v_mul_f64_e32 v[145:146], s[26:27], v[58:59]
	v_mul_f64_e32 v[147:148], s[16:17], v[86:87]
	v_mul_f64_e32 v[149:150], s[28:29], v[58:59]
	v_mul_f64_e32 v[151:152], s[14:15], v[86:87]
	v_mul_f64_e32 v[58:59], s[30:31], v[58:59]
	v_mul_f64_e32 v[86:87], s[12:13], v[86:87]
	v_add_f64_e64 v[121:122], v[62:63], -v[54:55]
	v_add_f64_e32 v[123:124], v[60:61], v[56:57]
	v_add_f64_e32 v[133:134], v[62:63], v[54:55]
	v_add_f64_e64 v[135:136], v[60:61], -v[56:57]
	v_mul_f64_e32 v[153:154], s[20:21], v[101:102]
	v_mul_f64_e32 v[155:156], s[28:29], v[101:102]
	;; [unrolled: 1-line block ×6, first 2 shown]
	v_add_f64_e32 v[125:126], v[72:73], v[48:49]
	v_add_f64_e64 v[127:128], v[72:73], -v[48:49]
	v_add_f64_e64 v[131:132], v[68:69], -v[50:51]
	v_add_f64_e32 v[64:65], v[103:104], v[64:65]
	v_add_f64_e32 v[80:81], v[105:106], v[80:81]
	s_wait_alu 0xfffe
	v_mul_f64_e32 v[103:104], s[34:35], v[101:102]
	v_mul_f64_e32 v[101:102], s[22:23], v[101:102]
	;; [unrolled: 1-line block ×12, first 2 shown]
	v_fma_f64 v[213:214], v[111:112], s[10:11], v[141:142]
	v_fma_f64 v[215:216], v[84:85], s[24:25], v[143:144]
	v_fma_f64 v[141:142], v[111:112], s[10:11], -v[141:142]
	v_fma_f64 v[217:218], v[111:112], s[16:17], v[145:146]
	v_fma_f64 v[219:220], v[84:85], s[34:35], v[147:148]
	v_fma_f64 v[145:146], v[111:112], s[16:17], -v[145:146]
	v_fma_f64 v[221:222], v[111:112], s[14:15], v[149:150]
	v_fma_f64 v[223:224], v[84:85], s[38:39], v[151:152]
	;; [unrolled: 1-line block ×3, first 2 shown]
	v_fma_f64 v[149:150], v[111:112], s[14:15], -v[149:150]
	v_fma_f64 v[225:226], v[111:112], s[12:13], v[58:59]
	v_fma_f64 v[227:228], v[84:85], s[36:37], v[86:87]
	;; [unrolled: 1-line block ×4, first 2 shown]
	v_fma_f64 v[58:59], v[111:112], s[12:13], -v[58:59]
	v_mul_f64_e32 v[109:110], s[28:29], v[109:110]
	v_mul_f64_e32 v[173:174], s[16:17], v[115:116]
	;; [unrolled: 1-line block ×3, first 2 shown]
	v_fma_f64 v[229:230], v[113:114], s[12:13], v[157:158]
	v_fma_f64 v[157:158], v[113:114], s[12:13], -v[157:158]
	v_fma_f64 v[235:236], v[76:77], s[38:39], v[159:160]
	v_mul_f64_e32 v[177:178], s[10:11], v[115:116]
	v_fma_f64 v[237:238], v[76:77], s[30:31], v[161:162]
	v_mul_f64_e32 v[179:180], s[4:5], v[115:116]
	v_add_f64_e32 v[60:61], v[64:65], v[60:61]
	v_add_f64_e32 v[62:63], v[80:81], v[62:63]
	v_mul_f64_e32 v[64:65], s[16:17], v[129:130]
	v_fma_f64 v[80:81], v[111:112], s[4:5], v[137:138]
	v_fma_f64 v[129:130], v[84:85], s[22:23], v[139:140]
	;; [unrolled: 1-line block ×4, first 2 shown]
	v_fma_f64 v[137:138], v[111:112], s[4:5], -v[137:138]
	v_fma_f64 v[86:87], v[113:114], s[10:11], v[153:154]
	v_fma_f64 v[111:112], v[113:114], s[10:11], -v[153:154]
	v_fma_f64 v[153:154], v[113:114], s[14:15], v[155:156]
	;; [unrolled: 2-line block ×5, first 2 shown]
	v_add_f64_e32 v[213:214], v[44:45], v[213:214]
	v_add_f64_e32 v[215:216], v[46:47], v[215:216]
	;; [unrolled: 1-line block ×8, first 2 shown]
	v_mul_f64_e32 v[115:116], s[14:15], v[115:116]
	v_fma_f64 v[159:160], v[76:77], s[28:29], v[159:160]
	v_add_f64_e32 v[143:144], v[46:47], v[143:144]
	v_add_f64_e32 v[149:150], v[44:45], v[149:150]
	;; [unrolled: 1-line block ×4, first 2 shown]
	v_fma_f64 v[105:106], v[76:77], s[20:21], v[105:106]
	v_add_f64_e32 v[58:59], v[44:45], v[58:59]
	v_add_f64_e32 v[151:152], v[46:47], v[151:152]
	;; [unrolled: 1-line block ×3, first 2 shown]
	v_mul_f64_e32 v[181:182], s[28:29], v[121:122]
	v_mul_f64_e32 v[183:184], s[34:35], v[121:122]
	;; [unrolled: 1-line block ×3, first 2 shown]
	v_add_f64_e32 v[60:61], v[60:61], v[72:73]
	v_add_f64_e32 v[62:63], v[62:63], v[68:69]
	v_fma_f64 v[72:73], v[76:77], s[26:27], v[163:164]
	v_add_f64_e32 v[80:81], v[44:45], v[80:81]
	v_add_f64_e32 v[129:130], v[46:47], v[129:130]
	v_fma_f64 v[68:69], v[76:77], s[36:37], v[161:162]
	v_fma_f64 v[161:162], v[76:77], s[34:35], v[163:164]
	;; [unrolled: 1-line block ×4, first 2 shown]
	v_add_f64_e32 v[84:85], v[46:47], v[84:85]
	v_add_f64_e32 v[44:45], v[44:45], v[137:138]
	;; [unrolled: 1-line block ×3, first 2 shown]
	v_mul_f64_e32 v[191:192], s[16:17], v[133:134]
	v_fma_f64 v[107:108], v[117:118], s[16:17], v[165:166]
	v_fma_f64 v[165:166], v[117:118], s[16:17], -v[165:166]
	v_fma_f64 v[239:240], v[117:118], s[12:13], v[167:168]
	v_fma_f64 v[167:168], v[117:118], s[12:13], -v[167:168]
	;; [unrolled: 2-line block ×5, first 2 shown]
	v_fma_f64 v[117:118], v[119:120], s[34:35], v[173:174]
	v_mul_f64_e32 v[185:186], s[18:19], v[121:122]
	v_mul_f64_e32 v[187:188], s[30:31], v[121:122]
	;; [unrolled: 1-line block ×4, first 2 shown]
	v_fma_f64 v[137:138], v[119:120], s[20:21], v[177:178]
	v_add_f64_e32 v[141:142], v[155:156], v[141:142]
	v_add_f64_e32 v[155:156], v[237:238], v[219:220]
	v_mul_f64_e32 v[195:196], s[12:13], v[133:134]
	v_add_f64_e32 v[145:146], v[157:158], v[145:146]
	v_add_f64_e32 v[157:158], v[231:232], v[221:222]
	v_mul_f64_e32 v[133:134], s[10:11], v[133:134]
	v_fma_f64 v[139:140], v[119:120], s[24:25], v[177:178]
	v_fma_f64 v[177:178], v[119:120], s[18:19], v[179:180]
	v_add_f64_e32 v[143:144], v[159:160], v[143:144]
	v_add_f64_e32 v[48:49], v[60:61], v[48:49]
	;; [unrolled: 1-line block ×3, first 2 shown]
	v_fma_f64 v[60:61], v[119:120], s[30:31], v[175:176]
	v_add_f64_e32 v[80:81], v[86:87], v[80:81]
	v_add_f64_e32 v[86:87], v[113:114], v[129:130]
	v_add_f64_e32 v[113:114], v[153:154], v[213:214]
	v_add_f64_e32 v[129:130], v[235:236], v[215:216]
	v_add_f64_e32 v[153:154], v[229:230], v[217:218]
	v_fma_f64 v[62:63], v[119:120], s[36:37], v[175:176]
	v_fma_f64 v[175:176], v[119:120], s[22:23], v[179:180]
	v_add_f64_e32 v[72:73], v[72:73], v[223:224]
	v_fma_f64 v[179:180], v[119:120], s[38:39], v[115:116]
	v_add_f64_e32 v[103:104], v[103:104], v[149:150]
	v_add_f64_e32 v[149:150], v[233:234], v[225:226]
	;; [unrolled: 1-line block ×3, first 2 shown]
	v_fma_f64 v[115:116], v[119:120], s[28:29], v[115:116]
	v_add_f64_e32 v[58:59], v[101:102], v[58:59]
	v_add_f64_e32 v[76:77], v[76:77], v[84:85]
	v_add_f64_e32 v[84:85], v[161:162], v[151:152]
	v_add_f64_e32 v[68:69], v[68:69], v[147:148]
	v_fma_f64 v[173:174], v[119:120], s[26:27], v[173:174]
	v_add_f64_e32 v[44:45], v[111:112], v[44:45]
	v_add_f64_e32 v[46:47], v[105:106], v[46:47]
	v_mul_f64_e32 v[197:198], s[30:31], v[131:132]
	v_mul_f64_e32 v[199:200], s[22:23], v[131:132]
	;; [unrolled: 1-line block ×5, first 2 shown]
	v_fma_f64 v[119:120], v[123:124], s[14:15], v[181:182]
	v_fma_f64 v[247:248], v[123:124], s[16:17], v[183:184]
	v_fma_f64 v[101:102], v[135:136], s[38:39], v[189:190]
	v_fma_f64 v[111:112], v[135:136], s[26:27], v[191:192]
	v_fma_f64 v[181:182], v[123:124], s[14:15], -v[181:182]
	v_fma_f64 v[183:184], v[123:124], s[16:17], -v[183:184]
	v_fma_f64 v[249:250], v[123:124], s[4:5], v[185:186]
	v_fma_f64 v[185:186], v[123:124], s[4:5], -v[185:186]
	v_fma_f64 v[251:252], v[123:124], s[12:13], v[187:188]
	v_fma_f64 v[187:188], v[123:124], s[12:13], -v[187:188]
	v_add_f64_e32 v[48:49], v[48:49], v[56:57]
	v_add_f64_e32 v[50:51], v[50:51], v[54:55]
	v_fma_f64 v[54:55], v[123:124], s[10:11], v[121:122]
	v_add_f64_e32 v[80:81], v[107:108], v[80:81]
	v_add_f64_e32 v[86:87], v[117:118], v[86:87]
	;; [unrolled: 1-line block ×4, first 2 shown]
	v_fma_f64 v[56:57], v[123:124], s[10:11], -v[121:122]
	v_fma_f64 v[123:124], v[135:136], s[22:23], v[193:194]
	v_add_f64_e32 v[117:118], v[241:242], v[153:154]
	v_add_f64_e32 v[129:130], v[137:138], v[155:156]
	v_fma_f64 v[151:152], v[135:136], s[36:37], v[195:196]
	v_add_f64_e32 v[113:114], v[167:168], v[141:142]
	v_add_f64_e32 v[141:142], v[243:244], v[157:158]
	;; [unrolled: 1-line block ×3, first 2 shown]
	v_fma_f64 v[121:122], v[135:136], s[34:35], v[191:192]
	v_fma_f64 v[163:164], v[135:136], s[20:21], v[133:134]
	v_add_f64_e32 v[62:63], v[62:63], v[143:144]
	v_add_f64_e32 v[137:138], v[169:170], v[145:146]
	;; [unrolled: 1-line block ×4, first 2 shown]
	v_fma_f64 v[133:134], v[135:136], s[24:25], v[133:134]
	v_add_f64_e32 v[58:59], v[109:110], v[58:59]
	v_add_f64_e32 v[76:77], v[115:116], v[76:77]
	v_fma_f64 v[161:162], v[135:136], s[30:31], v[195:196]
	v_add_f64_e32 v[103:104], v[171:172], v[103:104]
	v_add_f64_e32 v[84:85], v[177:178], v[84:85]
	v_fma_f64 v[147:148], v[135:136], s[18:19], v[193:194]
	v_add_f64_e32 v[68:69], v[139:140], v[68:69]
	v_fma_f64 v[105:106], v[135:136], s[28:29], v[189:190]
	v_add_f64_e32 v[44:45], v[165:166], v[44:45]
	v_add_f64_e32 v[46:47], v[173:174], v[46:47]
	v_fma_f64 v[135:136], v[125:126], s[12:13], v[197:198]
	v_fma_f64 v[189:190], v[125:126], s[12:13], -v[197:198]
	v_fma_f64 v[191:192], v[125:126], s[4:5], v[199:200]
	v_fma_f64 v[193:194], v[125:126], s[4:5], -v[199:200]
	v_fma_f64 v[109:110], v[125:126], s[14:15], -v[201:202]
	v_fma_f64 v[115:116], v[125:126], s[10:11], v[203:204]
	v_add_f64_e32 v[48:49], v[48:49], v[52:53]
	v_add_f64_e32 v[50:51], v[50:51], v[70:71]
	v_fma_f64 v[70:71], v[125:126], s[14:15], v[201:202]
	v_fma_f64 v[139:140], v[125:126], s[10:11], -v[203:204]
	v_fma_f64 v[149:150], v[125:126], s[16:17], v[131:132]
	v_fma_f64 v[125:126], v[125:126], s[16:17], -v[131:132]
	v_fma_f64 v[52:53], v[127:128], s[36:37], v[205:206]
	v_fma_f64 v[131:132], v[127:128], s[30:31], v[205:206]
	;; [unrolled: 1-line block ×10, first 2 shown]
	v_add_f64_e32 v[64:65], v[119:120], v[80:81]
	v_add_f64_e32 v[80:81], v[101:102], v[86:87]
	;; [unrolled: 1-line block ×20, first 2 shown]
	v_and_b32_e32 v44, 0xffff, v99
	v_add_f64_e32 v[143:144], v[48:49], v[66:67]
	v_add_f64_e32 v[145:146], v[50:51], v[78:79]
	;; [unrolled: 1-line block ×21, first 2 shown]
	v_mad_u32_u24 v73, 0x420, v44, 0
	v_add_nc_u32_e32 v44, 0x42, v90
	v_add_f64_e32 v[101:102], v[143:144], v[74:75]
	v_add_f64_e32 v[103:104], v[145:146], v[82:83]
	;; [unrolled: 1-line block ×3, first 2 shown]
	v_lshlrev_b32_e32 v74, 4, v100
	s_delay_alu instid0(VALU_DEP_1)
	v_add3_u32 v73, v73, v74, v98
	ds_store_b128 v73, v[49:52] offset:192
	ds_store_b128 v73, v[57:60] offset:288
	;; [unrolled: 1-line block ×9, first 2 shown]
	ds_store_b128 v73, v[101:104]
	ds_store_b128 v73, v[80:83] offset:960
	s_and_saveexec_b32 s1, s0
	s_cbranch_execz .LBB0_22
; %bb.21:
	v_and_b32_e32 v45, 0xff, v44
	s_delay_alu instid0(VALU_DEP_1) | instskip(NEXT) | instid1(VALU_DEP_1)
	v_mul_lo_u16 v45, 0xab, v45
	v_lshrrev_b16 v45, 10, v45
	s_delay_alu instid0(VALU_DEP_1) | instskip(SKIP_1) | instid1(VALU_DEP_2)
	v_mul_lo_u16 v46, v45, 6
	v_and_b32_e32 v45, 0xffff, v45
	v_sub_nc_u16 v46, v44, v46
	s_delay_alu instid0(VALU_DEP_2) | instskip(NEXT) | instid1(VALU_DEP_2)
	v_mad_u32_u24 v45, 0x420, v45, 0
	v_and_b32_e32 v46, 0xff, v46
	s_delay_alu instid0(VALU_DEP_1) | instskip(SKIP_1) | instid1(VALU_DEP_2)
	v_mul_u32_u24_e32 v47, 10, v46
	v_lshlrev_b32_e32 v46, 4, v46
	v_lshlrev_b32_e32 v83, 4, v47
	s_delay_alu instid0(VALU_DEP_2)
	v_add3_u32 v45, v45, v46, v98
	s_clause 0x9
	global_load_b128 v[47:50], v83, s[8:9]
	global_load_b128 v[51:54], v83, s[8:9] offset:64
	global_load_b128 v[55:58], v83, s[8:9] offset:80
	;; [unrolled: 1-line block ×9, first 2 shown]
	s_wait_loadcnt 0x9
	v_mul_f64_e32 v[99:100], v[4:5], v[49:50]
	v_mul_f64_e32 v[49:50], v[6:7], v[49:50]
	s_wait_loadcnt 0x8
	v_mul_f64_e32 v[101:102], v[22:23], v[53:54]
	v_mul_f64_e32 v[53:54], v[20:21], v[53:54]
	;; [unrolled: 3-line block ×3, first 2 shown]
	s_wait_loadcnt 0x3
	v_mul_f64_e32 v[111:112], v[34:35], v[73:74]
	s_wait_loadcnt 0x2
	v_mul_f64_e32 v[113:114], v[10:11], v[77:78]
	s_wait_loadcnt 0x1
	v_mul_f64_e32 v[115:116], v[38:39], v[81:82]
	v_mul_f64_e32 v[73:74], v[32:33], v[73:74]
	v_mul_f64_e32 v[77:78], v[8:9], v[77:78]
	;; [unrolled: 1-line block ×3, first 2 shown]
	s_wait_loadcnt 0x0
	v_mul_f64_e32 v[117:118], v[42:43], v[85:86]
	v_mul_f64_e32 v[85:86], v[40:41], v[85:86]
	;; [unrolled: 1-line block ×8, first 2 shown]
	v_fma_f64 v[99:100], v[6:7], v[47:48], -v[99:100]
	v_fma_f64 v[47:48], v[4:5], v[47:48], v[49:50]
	v_fma_f64 v[20:21], v[20:21], v[51:52], v[101:102]
	v_fma_f64 v[22:23], v[22:23], v[51:52], -v[53:54]
	v_fma_f64 v[49:50], v[12:13], v[59:60], v[105:106]
	v_fma_f64 v[51:52], v[14:15], v[59:60], -v[61:62]
	v_fma_f64 v[12:13], v[32:33], v[71:72], v[111:112]
	v_fma_f64 v[32:33], v[8:9], v[75:76], v[113:114]
	v_fma_f64 v[8:9], v[36:37], v[79:80], v[115:116]
	v_fma_f64 v[14:15], v[34:35], v[71:72], -v[73:74]
	v_fma_f64 v[34:35], v[10:11], v[75:76], -v[77:78]
	;; [unrolled: 1-line block ×3, first 2 shown]
	v_fma_f64 v[4:5], v[40:41], v[83:84], v[117:118]
	v_fma_f64 v[6:7], v[42:43], v[83:84], -v[85:86]
	v_fma_f64 v[16:17], v[16:17], v[67:68], v[109:110]
	v_fma_f64 v[18:19], v[18:19], v[67:68], -v[69:70]
	;; [unrolled: 2-line block ×4, first 2 shown]
	v_add_f64_e32 v[36:37], v[2:3], v[99:100]
	v_add_f64_e32 v[38:39], v[0:1], v[47:48]
	v_add_f64_e64 v[55:56], v[32:33], -v[8:9]
	v_add_f64_e64 v[65:66], v[34:35], -v[10:11]
	;; [unrolled: 1-line block ×6, first 2 shown]
	v_add_f64_e32 v[73:74], v[18:19], v[14:15]
	v_add_f64_e32 v[81:82], v[16:17], v[12:13]
	;; [unrolled: 1-line block ×4, first 2 shown]
	v_add_f64_e64 v[42:43], v[49:50], -v[28:29]
	v_add_f64_e32 v[79:80], v[49:50], v[28:29]
	v_add_f64_e64 v[61:62], v[51:52], -v[30:31]
	v_add_f64_e32 v[71:72], v[51:52], v[30:31]
	;; [unrolled: 2-line block ×4, first 2 shown]
	v_add_f64_e32 v[36:37], v[36:37], v[34:35]
	v_add_f64_e32 v[38:39], v[38:39], v[32:33]
	;; [unrolled: 1-line block ×4, first 2 shown]
	v_mul_f64_e32 v[101:102], s[22:23], v[55:56]
	v_mul_f64_e32 v[137:138], s[36:37], v[55:56]
	;; [unrolled: 1-line block ×30, first 2 shown]
	v_add_f64_e32 v[18:19], v[36:37], v[18:19]
	v_add_f64_e32 v[16:17], v[38:39], v[16:17]
	v_mul_f64_e32 v[38:39], s[34:35], v[55:56]
	v_mul_f64_e32 v[55:56], s[20:21], v[55:56]
	;; [unrolled: 1-line block ×6, first 2 shown]
	v_fma_f64 v[173:174], v[34:35], s[4:5], v[101:102]
	v_fma_f64 v[101:102], v[34:35], s[4:5], -v[101:102]
	v_fma_f64 v[203:204], v[34:35], s[14:15], v[157:158]
	v_fma_f64 v[183:184], v[32:33], s[4:5], -v[111:112]
	;; [unrolled: 2-line block ×3, first 2 shown]
	v_fma_f64 v[103:104], v[75:76], s[12:13], -v[103:104]
	v_fma_f64 v[113:114], v[47:48], s[12:13], v[113:114]
	v_fma_f64 v[187:188], v[75:76], s[14:15], v[119:120]
	v_fma_f64 v[189:190], v[47:48], s[14:15], -v[129:130]
	v_fma_f64 v[119:120], v[75:76], s[14:15], -v[119:120]
	v_fma_f64 v[129:130], v[47:48], s[14:15], v[129:130]
	v_fma_f64 v[191:192], v[75:76], s[16:17], v[139:140]
	v_fma_f64 v[193:194], v[75:76], s[10:11], -v[159:160]
	v_fma_f64 v[195:196], v[47:48], s[10:11], v[169:170]
	v_fma_f64 v[139:140], v[75:76], s[16:17], -v[139:140]
	;; [unrolled: 2-line block ×5, first 2 shown]
	v_fma_f64 v[111:112], v[32:33], s[4:5], v[111:112]
	v_fma_f64 v[75:76], v[32:33], s[16:17], v[127:128]
	v_fma_f64 v[201:202], v[32:33], s[12:13], -v[147:148]
	v_fma_f64 v[147:148], v[32:33], s[12:13], v[147:148]
	v_fma_f64 v[205:206], v[32:33], s[14:15], -v[167:168]
	v_fma_f64 v[157:158], v[34:35], s[14:15], -v[157:158]
	v_fma_f64 v[167:168], v[32:33], s[14:15], v[167:168]
	v_fma_f64 v[171:172], v[73:74], s[14:15], v[99:100]
	v_add_f64_e32 v[18:19], v[18:19], v[51:52]
	v_add_f64_e32 v[16:17], v[16:17], v[49:50]
	v_mul_f64_e32 v[49:50], s[18:19], v[67:68]
	v_mul_f64_e32 v[51:52], s[20:21], v[65:66]
	v_fma_f64 v[207:208], v[34:35], s[10:11], v[55:56]
	v_fma_f64 v[181:182], v[81:82], s[14:15], -v[109:110]
	v_fma_f64 v[99:100], v[73:74], s[14:15], -v[99:100]
	v_fma_f64 v[109:110], v[81:82], s[14:15], v[109:110]
	v_fma_f64 v[211:212], v[73:74], s[16:17], v[53:54]
	v_fma_f64 v[213:214], v[81:82], s[16:17], -v[63:64]
	v_fma_f64 v[53:54], v[73:74], s[16:17], -v[53:54]
	v_fma_f64 v[63:64], v[81:82], s[16:17], v[63:64]
	v_mul_f64_e32 v[42:43], s[28:29], v[42:43]
	v_mul_f64_e32 v[61:62], s[28:29], v[61:62]
	v_add_f64_e32 v[103:104], v[2:3], v[103:104]
	v_add_f64_e32 v[113:114], v[0:1], v[113:114]
	v_mul_f64_e32 v[115:116], s[24:25], v[40:41]
	v_mul_f64_e32 v[121:122], s[24:25], v[59:60]
	v_add_f64_e32 v[119:120], v[2:3], v[119:120]
	v_add_f64_e32 v[129:130], v[0:1], v[129:130]
	v_mul_f64_e32 v[131:132], s[28:29], v[40:41]
	v_mul_f64_e32 v[151:152], s[22:23], v[40:41]
	;; [unrolled: 1-line block ×3, first 2 shown]
	v_add_f64_e32 v[139:140], v[2:3], v[139:140]
	v_mul_f64_e32 v[141:142], s[28:29], v[59:60]
	v_add_f64_e32 v[149:150], v[0:1], v[149:150]
	v_add_f64_e32 v[159:160], v[2:3], v[159:160]
	;; [unrolled: 1-line block ×3, first 2 shown]
	v_mul_f64_e32 v[83:84], s[26:27], v[40:41]
	v_mul_f64_e32 v[105:106], s[26:27], v[59:60]
	;; [unrolled: 1-line block ×3, first 2 shown]
	v_fma_f64 v[67:68], v[71:72], s[10:11], v[85:86]
	v_fma_f64 v[179:180], v[79:80], s[10:11], -v[107:108]
	v_fma_f64 v[85:86], v[71:72], s[10:11], -v[85:86]
	v_fma_f64 v[107:108], v[79:80], s[10:11], v[107:108]
	v_mul_f64_e32 v[59:60], s[30:31], v[59:60]
	v_add_f64_e32 v[18:19], v[18:19], v[22:23]
	v_add_f64_e32 v[16:17], v[16:17], v[20:21]
	v_fma_f64 v[20:21], v[47:48], s[4:5], v[49:50]
	v_fma_f64 v[22:23], v[47:48], s[4:5], -v[49:50]
	v_fma_f64 v[47:48], v[34:35], s[16:17], v[38:39]
	v_fma_f64 v[49:50], v[32:33], s[16:17], -v[127:128]
	v_fma_f64 v[38:39], v[34:35], s[16:17], -v[38:39]
	v_fma_f64 v[127:128], v[34:35], s[12:13], v[137:138]
	v_fma_f64 v[137:138], v[34:35], s[12:13], -v[137:138]
	v_fma_f64 v[209:210], v[32:33], s[10:11], -v[51:52]
	;; [unrolled: 1-line block ×3, first 2 shown]
	v_fma_f64 v[32:33], v[32:33], s[10:11], v[51:52]
	v_add_f64_e32 v[51:52], v[2:3], v[175:176]
	v_add_f64_e32 v[55:56], v[0:1], v[185:186]
	;; [unrolled: 1-line block ×10, first 2 shown]
	v_fma_f64 v[57:58], v[73:74], s[10:11], v[135:136]
	v_fma_f64 v[135:136], v[73:74], s[10:11], -v[135:136]
	v_fma_f64 v[197:198], v[73:74], s[12:13], v[155:156]
	v_fma_f64 v[199:200], v[81:82], s[12:13], -v[165:166]
	v_fma_f64 v[155:156], v[73:74], s[12:13], -v[155:156]
	v_fma_f64 v[165:166], v[81:82], s[12:13], v[165:166]
	v_add_f64_e32 v[75:76], v[75:76], v[129:130]
	v_add_f64_e32 v[129:130], v[203:204], v[159:160]
	v_fma_f64 v[159:160], v[71:72], s[14:15], v[42:43]
	v_fma_f64 v[42:43], v[71:72], s[14:15], -v[42:43]
	v_fma_f64 v[65:66], v[69:70], s[16:17], v[83:84]
	v_fma_f64 v[177:178], v[77:78], s[16:17], -v[105:106]
	v_fma_f64 v[83:84], v[69:70], s[16:17], -v[83:84]
	v_fma_f64 v[105:106], v[77:78], s[16:17], v[105:106]
	v_add_f64_e32 v[18:19], v[18:19], v[26:27]
	v_add_f64_e32 v[16:17], v[16:17], v[24:25]
	;; [unrolled: 1-line block ×4, first 2 shown]
	v_fma_f64 v[22:23], v[73:74], s[4:5], v[36:37]
	v_fma_f64 v[24:25], v[81:82], s[4:5], -v[125:126]
	v_fma_f64 v[26:27], v[73:74], s[4:5], -v[36:37]
	v_fma_f64 v[36:37], v[81:82], s[4:5], v[125:126]
	v_fma_f64 v[125:126], v[81:82], s[10:11], -v[145:146]
	v_fma_f64 v[145:146], v[81:82], s[10:11], v[145:146]
	v_add_f64_e32 v[73:74], v[101:102], v[103:104]
	v_add_f64_e32 v[81:82], v[111:112], v[113:114]
	;; [unrolled: 1-line block ×16, first 2 shown]
	v_fma_f64 v[34:35], v[79:80], s[12:13], v[123:124]
	v_fma_f64 v[147:148], v[71:72], s[16:17], v[153:154]
	v_fma_f64 v[153:154], v[71:72], s[16:17], -v[153:154]
	v_fma_f64 v[157:158], v[79:80], s[16:17], v[163:164]
	v_fma_f64 v[149:150], v[79:80], s[16:17], -v[163:164]
	v_fma_f64 v[163:164], v[79:80], s[14:15], -v[61:62]
	v_fma_f64 v[61:62], v[79:80], s[14:15], v[61:62]
	v_add_f64_e32 v[18:19], v[18:19], v[30:31]
	v_add_f64_e32 v[16:17], v[16:17], v[28:29]
	;; [unrolled: 1-line block ×4, first 2 shown]
	v_fma_f64 v[28:29], v[71:72], s[12:13], v[117:118]
	v_fma_f64 v[30:31], v[79:80], s[12:13], -v[123:124]
	v_fma_f64 v[32:33], v[71:72], s[12:13], -v[117:118]
	v_fma_f64 v[117:118], v[71:72], s[4:5], v[133:134]
	v_add_f64_e32 v[36:37], v[36:37], v[75:76]
	v_fma_f64 v[123:124], v[79:80], s[4:5], -v[143:144]
	v_fma_f64 v[133:134], v[71:72], s[4:5], -v[133:134]
	v_fma_f64 v[143:144], v[79:80], s[4:5], v[143:144]
	v_add_f64_e32 v[26:27], v[26:27], v[38:39]
	v_add_f64_e32 v[71:72], v[99:100], v[73:74]
	;; [unrolled: 1-line block ×17, first 2 shown]
	v_fma_f64 v[103:104], v[69:70], s[14:15], v[131:132]
	v_fma_f64 v[125:126], v[77:78], s[4:5], v[161:162]
	v_fma_f64 v[53:54], v[69:70], s[10:11], -v[115:116]
	v_fma_f64 v[111:112], v[69:70], s[14:15], -v[131:132]
	v_fma_f64 v[113:114], v[77:78], s[14:15], v[141:142]
	v_fma_f64 v[127:128], v[69:70], s[12:13], v[40:41]
	v_fma_f64 v[40:41], v[69:70], s[12:13], -v[40:41]
	v_fma_f64 v[109:110], v[77:78], s[14:15], -v[141:142]
	;; [unrolled: 1-line block ×3, first 2 shown]
	v_add_f64_e32 v[14:15], v[18:19], v[14:15]
	v_add_f64_e32 v[12:13], v[16:17], v[12:13]
	;; [unrolled: 1-line block ×4, first 2 shown]
	v_fma_f64 v[18:19], v[69:70], s[10:11], v[115:116]
	v_fma_f64 v[20:21], v[77:78], s[10:11], -v[121:122]
	v_fma_f64 v[63:64], v[77:78], s[10:11], v[121:122]
	v_fma_f64 v[121:122], v[69:70], s[4:5], -v[151:152]
	;; [unrolled: 2-line block ×3, first 2 shown]
	v_fma_f64 v[59:60], v[77:78], s[12:13], v[59:60]
	v_add_f64_e32 v[26:27], v[32:33], v[26:27]
	v_add_f64_e32 v[22:23], v[28:29], v[22:23]
	;; [unrolled: 1-line block ×44, first 2 shown]
	ds_store_b128 v45, v[28:31] offset:192
	ds_store_b128 v45, v[24:27] offset:288
	;; [unrolled: 1-line block ×8, first 2 shown]
	ds_store_b128 v45, v[4:7]
	ds_store_b128 v45, v[40:43] offset:96
	ds_store_b128 v45, v[36:39] offset:960
.LBB0_22:
	s_wait_alu 0xfffe
	s_or_b32 exec_lo, exec_lo, s1
	v_add_nc_u32_e32 v55, 0x84, v90
	v_add_nc_u32_e32 v54, 0xc6, v90
	;; [unrolled: 1-line block ×5, first 2 shown]
	v_and_b32_e32 v0, 0xff, v55
	v_and_b32_e32 v1, 0xffff, v54
	;; [unrolled: 1-line block ×3, first 2 shown]
	v_add_nc_u32_e32 v9, 0x1ce, v90
	v_and_b32_e32 v5, 0xffff, v56
	v_mul_lo_u16 v0, 0xf9, v0
	v_add_nc_u32_e32 v10, 0x210, v90
	v_mul_u32_u24_e32 v1, 0xf83f, v1
	v_and_b32_e32 v6, 0xffff, v8
	v_mul_u32_u24_e32 v17, 0xf83f, v4
	v_lshrrev_b16 v0, 14, v0
	v_and_b32_e32 v11, 0xffff, v9
	v_mul_u32_u24_e32 v16, 0xf83f, v5
	v_lshrrev_b32_e32 v2, 22, v1
	v_and_b32_e32 v12, 0xffff, v10
	v_mul_lo_u16 v3, 0x42, v0
	v_mul_u32_u24_e32 v13, 0xf83f, v6
	v_lshrrev_b32_e32 v14, 22, v17
	v_lshrrev_b32_e32 v15, 22, v16
	v_mul_u32_u24_e32 v11, 0xf83f, v11
	v_mul_lo_u16 v2, 0x42, v2
	v_mul_u32_u24_e32 v12, 0xf83f, v12
	v_sub_nc_u16 v3, v55, v3
	v_mul_lo_u16 v14, 0x42, v14
	v_lshrrev_b32_e32 v13, 22, v13
	v_mul_lo_u16 v15, 0x42, v15
	v_lshrrev_b32_e32 v11, 22, v11
	v_sub_nc_u16 v2, v54, v2
	v_lshrrev_b32_e32 v12, 22, v12
	v_and_b32_e32 v3, 0xff, v3
	v_sub_nc_u16 v14, v57, v14
	v_mul_lo_u16 v13, 0x42, v13
	v_add_co_u32 v0, s0, s8, v94
	v_sub_nc_u16 v15, v56, v15
	v_mul_lo_u16 v11, 0x42, v11
	s_wait_alu 0xf1ff
	v_add_co_ci_u32_e64 v1, s0, s9, v95, s0
	v_and_b32_e32 v2, 0xffff, v2
	v_mul_lo_u16 v12, 0x42, v12
	v_lshlrev_b32_e32 v18, 4, v3
	v_and_b32_e32 v14, 0xffff, v14
	v_sub_nc_u16 v8, v8, v13
	v_and_b32_e32 v13, 0xffff, v15
	v_sub_nc_u16 v9, v9, v11
	global_wb scope:SCOPE_SE
	s_wait_dscnt 0x0
	s_barrier_signal -1
	s_barrier_wait -1
	global_inv scope:SCOPE_SE
	v_lshlrev_b32_e32 v19, 4, v2
	s_clause 0x1
	global_load_b128 v[0:3], v[0:1], off offset:960
	global_load_b128 v[4:7], v18, s[8:9] offset:960
	v_sub_nc_u16 v10, v10, v12
	v_lshlrev_b32_e32 v20, 4, v14
	v_and_b32_e32 v12, 0xffff, v8
	v_lshlrev_b32_e32 v21, 4, v13
	v_and_b32_e32 v23, 0xffff, v9
	v_and_b32_e32 v24, 0xffff, v10
	global_load_b128 v[8:11], v19, s[8:9] offset:960
	v_lshlrev_b32_e32 v22, 4, v12
	global_load_b128 v[12:15], v20, s[8:9] offset:960
	v_lshlrev_b32_e32 v23, 4, v23
	;; [unrolled: 2-line block ×3, first 2 shown]
	s_clause 0x2
	global_load_b128 v[29:32], v22, s[8:9] offset:960
	global_load_b128 v[33:36], v23, s[8:9] offset:960
	;; [unrolled: 1-line block ×3, first 2 shown]
	ds_load_b128 v[45:48], v91 offset:9504
	ds_load_b128 v[49:52], v91 offset:10560
	;; [unrolled: 1-line block ×10, first 2 shown]
	v_lshrrev_b32_e32 v53, 23, v16
	v_add3_u32 v18, 0, v18, v98
	v_add3_u32 v19, 0, v19, v98
	;; [unrolled: 1-line block ×4, first 2 shown]
	v_mul_lo_u16 v53, 0x84, v53
	v_add3_u32 v22, 0, v22, v98
	v_add3_u32 v23, 0, v23, v98
	;; [unrolled: 1-line block ×3, first 2 shown]
	s_mov_b32 s4, 0xe8584caa
	s_mov_b32 s5, 0xbfebb67a
	;; [unrolled: 1-line block ×3, first 2 shown]
	s_wait_alu 0xfffe
	s_mov_b32 s10, s4
	s_wait_loadcnt_dscnt 0x709
	v_mul_f64_e32 v[41:42], v[47:48], v[2:3]
	v_mul_f64_e32 v[86:87], v[45:46], v[2:3]
	s_wait_dscnt 0x8
	v_mul_f64_e32 v[94:95], v[51:52], v[2:3]
	v_mul_f64_e32 v[2:3], v[49:50], v[2:3]
	s_wait_loadcnt_dscnt 0x607
	v_mul_f64_e32 v[103:104], v[60:61], v[6:7]
	v_mul_f64_e32 v[6:7], v[58:59], v[6:7]
	s_wait_loadcnt_dscnt 0x506
	;; [unrolled: 3-line block ×7, first 2 shown]
	v_mul_f64_e32 v[115:116], v[84:85], v[39:40]
	v_mul_f64_e32 v[39:40], v[82:83], v[39:40]
	v_fma_f64 v[41:42], v[45:46], v[0:1], v[41:42]
	v_fma_f64 v[86:87], v[47:48], v[0:1], -v[86:87]
	v_fma_f64 v[94:95], v[49:50], v[0:1], v[94:95]
	v_fma_f64 v[117:118], v[51:52], v[0:1], -v[2:3]
	;; [unrolled: 2-line block ×9, first 2 shown]
	ds_load_b128 v[25:28], v97
	ds_load_b128 v[29:32], v91 offset:1056
	ds_load_b128 v[33:36], v91 offset:2112
	;; [unrolled: 1-line block ×7, first 2 shown]
	global_wb scope:SCOPE_SE
	s_wait_dscnt 0x0
	s_barrier_signal -1
	s_barrier_wait -1
	global_inv scope:SCOPE_SE
	v_add_f64_e64 v[0:1], v[25:26], -v[41:42]
	v_add_f64_e64 v[2:3], v[27:28], -v[86:87]
	;; [unrolled: 1-line block ×18, first 2 shown]
	v_dual_mov_b32 v13, 0 :: v_dual_lshlrev_b32 v12, 1, v90
	s_delay_alu instid0(VALU_DEP_1) | instskip(SKIP_1) | instid1(VALU_DEP_1)
	v_lshlrev_b64_e32 v[14:15], 4, v[12:13]
	v_lshlrev_b32_e32 v12, 1, v44
	v_lshlrev_b64_e32 v[86:87], 4, v[12:13]
	v_lshrrev_b32_e32 v12, 23, v17
	s_delay_alu instid0(VALU_DEP_4)
	v_add_co_u32 v14, s0, s8, v14
	s_wait_alu 0xf1ff
	v_add_co_ci_u32_e64 v15, s0, s9, v15, s0
	v_fma_f64 v[25:26], v[25:26], 2.0, -v[0:1]
	v_fma_f64 v[27:28], v[27:28], 2.0, -v[2:3]
	;; [unrolled: 1-line block ×6, first 2 shown]
	v_mul_lo_u16 v12, 0x84, v12
	v_add_co_u32 v16, s0, s8, v86
	v_fma_f64 v[37:38], v[37:38], 2.0, -v[66:67]
	v_fma_f64 v[39:40], v[39:40], 2.0, -v[68:69]
	;; [unrolled: 1-line block ×12, first 2 shown]
	s_wait_alu 0xf1ff
	v_add_co_ci_u32_e64 v17, s0, s9, v87, s0
	ds_store_b128 v91, v[25:28]
	ds_store_b128 v91, v[0:3] offset:1056
	ds_store_b128 v91, v[29:32] offset:2112
	;; [unrolled: 1-line block ×17, first 2 shown]
	v_sub_nc_u16 v0, v57, v12
	v_sub_nc_u16 v1, v56, v53
	global_wb scope:SCOPE_SE
	s_wait_dscnt 0x0
	s_barrier_signal -1
	s_barrier_wait -1
	global_inv scope:SCOPE_SE
	s_clause 0x3
	global_load_b128 v[8:11], v[14:15], off offset:2016
	global_load_b128 v[18:21], v[14:15], off offset:2032
	;; [unrolled: 1-line block ×4, first 2 shown]
	v_and_b32_e32 v58, 0xffff, v0
	v_and_b32_e32 v59, 0xffff, v1
	v_lshlrev_b32_e32 v12, 1, v55
	s_delay_alu instid0(VALU_DEP_3) | instskip(NEXT) | instid1(VALU_DEP_3)
	v_lshlrev_b32_e32 v0, 5, v58
	v_lshlrev_b32_e32 v1, 5, v59
	s_clause 0x3
	global_load_b128 v[40:43], v0, s[8:9] offset:2016
	global_load_b128 v[50:53], v0, s[8:9] offset:2032
	;; [unrolled: 1-line block ×4, first 2 shown]
	ds_load_b128 v[0:3], v91 offset:6336
	ds_load_b128 v[4:7], v91 offset:12672
	;; [unrolled: 1-line block ×12, first 2 shown]
	s_wait_loadcnt_dscnt 0x60a
	v_mul_f64_e32 v[94:95], v[6:7], v[20:21]
	v_mul_f64_e32 v[30:31], v[2:3], v[10:11]
	;; [unrolled: 1-line block ×4, first 2 shown]
	s_wait_loadcnt_dscnt 0x409
	v_mul_f64_e32 v[109:110], v[34:35], v[28:29]
	v_mul_f64_e32 v[111:112], v[32:33], v[28:29]
	s_wait_dscnt 0x8
	v_mul_f64_e32 v[113:114], v[38:39], v[24:25]
	v_mul_f64_e32 v[115:116], v[36:37], v[24:25]
	s_wait_dscnt 0x7
	;; [unrolled: 3-line block ×5, first 2 shown]
	v_mul_f64_e32 v[123:124], v[78:79], v[24:25]
	v_mul_f64_e32 v[24:25], v[76:77], v[24:25]
	s_wait_loadcnt_dscnt 0x303
	v_mul_f64_e32 v[125:126], v[82:83], v[42:43]
	v_mul_f64_e32 v[127:128], v[80:81], v[42:43]
	s_wait_loadcnt_dscnt 0x201
	v_mul_f64_e32 v[129:130], v[101:102], v[52:53]
	v_mul_f64_e32 v[131:132], v[99:100], v[52:53]
	s_wait_loadcnt 0x1
	v_mul_f64_e32 v[133:134], v[86:87], v[62:63]
	s_wait_loadcnt_dscnt 0x0
	v_mul_f64_e32 v[135:136], v[105:106], v[66:67]
	v_mul_f64_e32 v[62:63], v[84:85], v[62:63]
	;; [unrolled: 1-line block ×3, first 2 shown]
	v_fma_f64 v[30:31], v[0:1], v[8:9], v[30:31]
	v_fma_f64 v[52:53], v[2:3], v[8:9], -v[48:49]
	v_fma_f64 v[0:1], v[4:5], v[18:19], v[94:95]
	v_fma_f64 v[2:3], v[6:7], v[18:19], -v[107:108]
	;; [unrolled: 2-line block ×10, first 2 shown]
	v_fma_f64 v[40:41], v[84:85], v[60:61], v[133:134]
	v_fma_f64 v[26:27], v[103:104], v[64:65], v[135:136]
	v_fma_f64 v[50:51], v[86:87], v[60:61], -v[62:63]
	v_fma_f64 v[28:29], v[105:106], v[64:65], -v[66:67]
	ds_load_b128 v[60:63], v97
	ds_load_b128 v[64:67], v91 offset:1056
	ds_load_b128 v[68:71], v91 offset:2112
	;; [unrolled: 1-line block ×5, first 2 shown]
	global_wb scope:SCOPE_SE
	s_wait_dscnt 0x0
	s_barrier_signal -1
	s_barrier_wait -1
	global_inv scope:SCOPE_SE
	v_add_f64_e32 v[84:85], v[30:31], v[0:1]
	v_add_f64_e32 v[86:87], v[52:53], v[2:3]
	v_add_f64_e64 v[119:120], v[52:53], -v[2:3]
	v_add_f64_e32 v[94:95], v[32:33], v[4:5]
	v_add_f64_e32 v[99:100], v[42:43], v[6:7]
	;; [unrolled: 1-line block ×18, first 2 shown]
	v_add_f64_e64 v[42:43], v[42:43], -v[6:7]
	v_add_f64_e32 v[133:134], v[76:77], v[38:39]
	v_add_f64_e32 v[135:136], v[78:79], v[48:49]
	;; [unrolled: 1-line block ×4, first 2 shown]
	v_fma_f64 v[60:61], v[84:85], -0.5, v[60:61]
	v_add_f64_e64 v[84:85], v[30:31], -v[0:1]
	v_fma_f64 v[62:63], v[86:87], -0.5, v[62:63]
	v_add_f64_e64 v[86:87], v[32:33], -v[4:5]
	v_fma_f64 v[64:65], v[94:95], -0.5, v[64:65]
	v_fma_f64 v[66:67], v[99:100], -0.5, v[66:67]
	v_add_f64_e64 v[94:95], v[44:45], -v[10:11]
	v_add_f64_e64 v[99:100], v[34:35], -v[8:9]
	v_fma_f64 v[68:69], v[101:102], -0.5, v[68:69]
	v_fma_f64 v[70:71], v[103:104], -0.5, v[70:71]
	v_add_f64_e64 v[101:102], v[46:47], -v[20:21]
	;; [unrolled: 4-line block ×4, first 2 shown]
	v_fma_f64 v[80:81], v[113:114], -0.5, v[80:81]
	v_add_f64_e64 v[111:112], v[40:41], -v[26:27]
	v_fma_f64 v[82:83], v[115:116], -0.5, v[82:83]
	v_add_f64_e32 v[0:1], v[117:118], v[0:1]
	v_add_f64_e32 v[2:3], v[52:53], v[2:3]
	;; [unrolled: 1-line block ×12, first 2 shown]
	v_lshlrev_b64_e32 v[113:114], 4, v[12:13]
	v_lshlrev_b32_e32 v12, 1, v54
	v_fma_f64 v[30:31], v[119:120], s[4:5], v[60:61]
	s_wait_alu 0xfffe
	v_fma_f64 v[34:35], v[119:120], s[10:11], v[60:61]
	v_fma_f64 v[32:33], v[84:85], s[10:11], v[62:63]
	;; [unrolled: 1-line block ×23, first 2 shown]
	v_lshlrev_b64_e32 v[54:55], 4, v[12:13]
	v_lshlrev_b32_e32 v12, 1, v57
	v_lshlrev_b32_e32 v57, 4, v59
	v_add_co_u32 v84, s0, s8, v113
	s_wait_alu 0xf1ff
	v_add_co_ci_u32_e64 v85, s0, s9, v114, s0
	v_lshlrev_b64_e32 v[86:87], 4, v[12:13]
	v_lshlrev_b32_e32 v12, 1, v56
	v_lshlrev_b32_e32 v56, 4, v58
	v_add_co_u32 v54, s0, s8, v54
	v_add3_u32 v57, 0, v57, v98
	s_wait_alu 0xf1ff
	v_add_co_ci_u32_e64 v55, s0, s9, v55, s0
	v_add3_u32 v56, 0, v56, v98
	ds_store_b128 v91, v[0:3]
	ds_store_b128 v91, v[4:7] offset:1056
	ds_store_b128 v91, v[8:11] offset:6336
	;; [unrolled: 1-line block ×17, first 2 shown]
	v_lshlrev_b64_e32 v[34:35], 4, v[12:13]
	global_wb scope:SCOPE_SE
	s_wait_dscnt 0x0
	s_barrier_signal -1
	s_barrier_wait -1
	global_inv scope:SCOPE_SE
	s_clause 0x1
	global_load_b128 v[0:3], v[14:15], off offset:6256
	global_load_b128 v[4:7], v[14:15], off offset:6240
	v_add_co_u32 v38, s0, s8, v86
	s_clause 0x3
	global_load_b128 v[8:11], v[16:17], off offset:6256
	global_load_b128 v[14:17], v[16:17], off offset:6240
	global_load_b128 v[18:21], v[84:85], off offset:6256
	global_load_b128 v[22:25], v[84:85], off offset:6240
	s_wait_alu 0xf1ff
	v_add_co_ci_u32_e64 v39, s0, s9, v87, s0
	v_add_co_u32 v46, s0, s8, v34
	s_clause 0x1
	global_load_b128 v[26:29], v[54:55], off offset:6256
	global_load_b128 v[30:33], v[54:55], off offset:6240
	s_wait_alu 0xf1ff
	v_add_co_ci_u32_e64 v47, s0, s9, v35, s0
	s_clause 0x3
	global_load_b128 v[34:37], v[38:39], off offset:6240
	global_load_b128 v[38:41], v[38:39], off offset:6256
	;; [unrolled: 1-line block ×4, first 2 shown]
	ds_load_b128 v[50:53], v91 offset:6336
	ds_load_b128 v[54:57], v91 offset:12672
	ds_load_b128 v[58:61], v91 offset:7392
	ds_load_b128 v[62:65], v91 offset:13728
	ds_load_b128 v[66:69], v91 offset:8448
	ds_load_b128 v[70:73], v91 offset:14784
	ds_load_b128 v[74:77], v91 offset:9504
	ds_load_b128 v[78:81], v91 offset:15840
	ds_load_b128 v[82:85], v91 offset:10560
	ds_load_b128 v[98:101], v91 offset:11616
	ds_load_b128 v[102:105], v91 offset:16896
	ds_load_b128 v[106:109], v91 offset:17952
	s_wait_loadcnt_dscnt 0xb0a
	v_mul_f64_e32 v[94:95], v[56:57], v[2:3]
	s_wait_loadcnt 0xa
	v_mul_f64_e32 v[86:87], v[52:53], v[6:7]
	v_mul_f64_e32 v[6:7], v[50:51], v[6:7]
	;; [unrolled: 1-line block ×3, first 2 shown]
	s_wait_loadcnt_dscnt 0x809
	v_mul_f64_e32 v[110:111], v[60:61], v[16:17]
	s_wait_dscnt 0x8
	v_mul_f64_e32 v[112:113], v[64:65], v[10:11]
	v_mul_f64_e32 v[16:17], v[58:59], v[16:17]
	;; [unrolled: 1-line block ×3, first 2 shown]
	s_wait_loadcnt_dscnt 0x607
	v_mul_f64_e32 v[114:115], v[68:69], v[24:25]
	v_mul_f64_e32 v[24:25], v[66:67], v[24:25]
	s_wait_dscnt 0x6
	v_mul_f64_e32 v[116:117], v[72:73], v[20:21]
	v_mul_f64_e32 v[20:21], v[70:71], v[20:21]
	s_wait_loadcnt_dscnt 0x405
	v_mul_f64_e32 v[118:119], v[76:77], v[32:33]
	v_mul_f64_e32 v[32:33], v[74:75], v[32:33]
	s_wait_dscnt 0x4
	v_mul_f64_e32 v[120:121], v[80:81], v[28:29]
	v_mul_f64_e32 v[28:29], v[78:79], v[28:29]
	s_wait_loadcnt_dscnt 0x303
	v_mul_f64_e32 v[122:123], v[84:85], v[36:37]
	v_mul_f64_e32 v[36:37], v[82:83], v[36:37]
	s_wait_loadcnt_dscnt 0x201
	v_mul_f64_e32 v[124:125], v[104:105], v[40:41]
	v_mul_f64_e32 v[40:41], v[102:103], v[40:41]
	s_wait_loadcnt 0x1
	v_mul_f64_e32 v[126:127], v[100:101], v[44:45]
	v_mul_f64_e32 v[44:45], v[98:99], v[44:45]
	s_wait_loadcnt_dscnt 0x0
	v_mul_f64_e32 v[128:129], v[108:109], v[48:49]
	v_mul_f64_e32 v[48:49], v[106:107], v[48:49]
	v_fma_f64 v[54:55], v[54:55], v[0:1], v[94:95]
	v_fma_f64 v[50:51], v[50:51], v[4:5], v[86:87]
	v_fma_f64 v[52:53], v[52:53], v[4:5], -v[6:7]
	v_fma_f64 v[56:57], v[56:57], v[0:1], -v[2:3]
	v_fma_f64 v[58:59], v[58:59], v[14:15], v[110:111]
	v_fma_f64 v[62:63], v[62:63], v[8:9], v[112:113]
	v_fma_f64 v[60:61], v[60:61], v[14:15], -v[16:17]
	v_fma_f64 v[64:65], v[64:65], v[8:9], -v[10:11]
	v_fma_f64 v[66:67], v[66:67], v[22:23], v[114:115]
	v_fma_f64 v[68:69], v[68:69], v[22:23], -v[24:25]
	v_fma_f64 v[70:71], v[70:71], v[18:19], v[116:117]
	;; [unrolled: 2-line block ×8, first 2 shown]
	v_fma_f64 v[46:47], v[108:109], v[46:47], -v[48:49]
	ds_load_b128 v[0:3], v97
	ds_load_b128 v[4:7], v91 offset:1056
	ds_load_b128 v[8:11], v91 offset:2112
	;; [unrolled: 1-line block ×5, first 2 shown]
	global_wb scope:SCOPE_SE
	s_wait_dscnt 0x0
	s_barrier_signal -1
	s_barrier_wait -1
	global_inv scope:SCOPE_SE
	v_add_f64_e32 v[48:49], v[50:51], v[54:55]
	v_add_f64_e32 v[76:77], v[52:53], v[56:57]
	v_add_f64_e64 v[107:108], v[52:53], -v[56:57]
	v_add_f64_e32 v[78:79], v[58:59], v[62:63]
	v_add_f64_e32 v[105:106], v[0:1], v[50:51]
	;; [unrolled: 1-line block ×22, first 2 shown]
	v_add_f64_e64 v[50:51], v[50:51], -v[54:55]
	v_add_f64_e64 v[60:61], v[60:61], -v[64:65]
	;; [unrolled: 1-line block ×11, first 2 shown]
	v_fma_f64 v[48:49], v[48:49], -0.5, v[0:1]
	v_fma_f64 v[76:77], v[76:77], -0.5, v[2:3]
	v_fma_f64 v[78:79], v[78:79], -0.5, v[4:5]
	v_add_f64_e32 v[0:1], v[105:106], v[54:55]
	v_fma_f64 v[80:81], v[80:81], -0.5, v[6:7]
	v_add_f64_e32 v[2:3], v[52:53], v[56:57]
	v_add_f64_e32 v[4:5], v[109:110], v[62:63]
	v_fma_f64 v[82:83], v[82:83], -0.5, v[8:9]
	v_fma_f64 v[84:85], v[84:85], -0.5, v[10:11]
	v_add_f64_e32 v[6:7], v[111:112], v[64:65]
	v_add_f64_e32 v[8:9], v[113:114], v[70:71]
	v_fma_f64 v[86:87], v[86:87], -0.5, v[14:15]
	;; [unrolled: 4-line block ×4, first 2 shown]
	v_fma_f64 v[103:104], v[103:104], -0.5, v[24:25]
	v_add_f64_e32 v[20:21], v[123:124], v[38:39]
	v_add_f64_e32 v[22:23], v[125:126], v[44:45]
	;; [unrolled: 1-line block ×3, first 2 shown]
	v_fma_f64 v[26:27], v[107:108], s[4:5], v[48:49]
	v_fma_f64 v[30:31], v[107:108], s[10:11], v[48:49]
	;; [unrolled: 1-line block ×24, first 2 shown]
	ds_store_b128 v91, v[0:3]
	ds_store_b128 v91, v[4:7] offset:1056
	ds_store_b128 v91, v[8:11] offset:2112
	;; [unrolled: 1-line block ×17, first 2 shown]
	global_wb scope:SCOPE_SE
	s_wait_dscnt 0x0
	s_barrier_signal -1
	s_barrier_wait -1
	global_inv scope:SCOPE_SE
	s_and_saveexec_b32 s0, vcc_lo
	s_cbranch_execz .LBB0_24
; %bb.23:
	v_mul_lo_u32 v2, s3, v92
	v_mul_lo_u32 v3, s2, v93
	v_mad_co_u64_u32 v[0:1], null, s2, v92, 0
	v_dual_mov_b32 v91, v13 :: v_dual_add_nc_u32 v12, 0x42, v90
	v_lshlrev_b64_e32 v[8:9], 4, v[88:89]
	v_lshl_add_u32 v36, v90, 4, v96
	s_delay_alu instid0(VALU_DEP_3) | instskip(SKIP_3) | instid1(VALU_DEP_3)
	v_lshlrev_b64_e32 v[10:11], 4, v[90:91]
	v_add3_u32 v1, v1, v3, v2
	v_lshlrev_b64_e32 v[18:19], 4, v[12:13]
	v_add_nc_u32_e32 v12, 0x84, v90
	v_lshlrev_b64_e32 v[14:15], 4, v[0:1]
	ds_load_b128 v[0:3], v36
	ds_load_b128 v[4:7], v36 offset:1056
	v_lshlrev_b64_e32 v[20:21], 4, v[12:13]
	v_add_nc_u32_e32 v12, 0xc6, v90
	v_add_co_u32 v14, vcc_lo, s6, v14
	s_wait_alu 0xfffd
	v_add_co_ci_u32_e32 v15, vcc_lo, s7, v15, vcc_lo
	s_delay_alu instid0(VALU_DEP_3) | instskip(NEXT) | instid1(VALU_DEP_3)
	v_lshlrev_b64_e32 v[24:25], 4, v[12:13]
	v_add_co_u32 v37, vcc_lo, v14, v8
	s_wait_alu 0xfffd
	s_delay_alu instid0(VALU_DEP_3) | instskip(SKIP_1) | instid1(VALU_DEP_3)
	v_add_co_ci_u32_e32 v38, vcc_lo, v15, v9, vcc_lo
	v_add_nc_u32_e32 v12, 0x108, v90
	v_add_co_u32 v22, vcc_lo, v37, v10
	s_wait_alu 0xfffd
	s_delay_alu instid0(VALU_DEP_3)
	v_add_co_ci_u32_e32 v23, vcc_lo, v38, v11, vcc_lo
	ds_load_b128 v[8:11], v36 offset:2112
	ds_load_b128 v[14:17], v36 offset:3168
	v_add_co_u32 v18, vcc_lo, v37, v18
	s_wait_alu 0xfffd
	v_add_co_ci_u32_e32 v19, vcc_lo, v38, v19, vcc_lo
	v_add_co_u32 v20, vcc_lo, v37, v20
	s_wait_alu 0xfffd
	v_add_co_ci_u32_e32 v21, vcc_lo, v38, v21, vcc_lo
	v_add_co_u32 v24, vcc_lo, v37, v24
	v_lshlrev_b64_e32 v[26:27], 4, v[12:13]
	v_add_nc_u32_e32 v12, 0x14a, v90
	s_wait_alu 0xfffd
	v_add_co_ci_u32_e32 v25, vcc_lo, v38, v25, vcc_lo
	s_wait_dscnt 0x3
	global_store_b128 v[22:23], v[0:3], off
	s_wait_dscnt 0x2
	global_store_b128 v[18:19], v[4:7], off
	;; [unrolled: 2-line block ×4, first 2 shown]
	v_lshlrev_b64_e32 v[18:19], 4, v[12:13]
	v_add_nc_u32_e32 v12, 0x18c, v90
	ds_load_b128 v[0:3], v36 offset:4224
	ds_load_b128 v[4:7], v36 offset:5280
	;; [unrolled: 1-line block ×4, first 2 shown]
	v_add_co_u32 v20, vcc_lo, v37, v26
	v_lshlrev_b64_e32 v[22:23], 4, v[12:13]
	v_add_nc_u32_e32 v12, 0x1ce, v90
	s_wait_alu 0xfffd
	v_add_co_ci_u32_e32 v21, vcc_lo, v38, v27, vcc_lo
	v_add_co_u32 v18, vcc_lo, v37, v18
	s_delay_alu instid0(VALU_DEP_3)
	v_lshlrev_b64_e32 v[24:25], 4, v[12:13]
	v_add_nc_u32_e32 v12, 0x210, v90
	s_wait_alu 0xfffd
	v_add_co_ci_u32_e32 v19, vcc_lo, v38, v19, vcc_lo
	v_add_co_u32 v22, vcc_lo, v37, v22
	s_wait_alu 0xfffd
	v_add_co_ci_u32_e32 v23, vcc_lo, v38, v23, vcc_lo
	v_add_co_u32 v24, vcc_lo, v37, v24
	v_lshlrev_b64_e32 v[26:27], 4, v[12:13]
	v_add_nc_u32_e32 v12, 0x252, v90
	s_wait_alu 0xfffd
	v_add_co_ci_u32_e32 v25, vcc_lo, v38, v25, vcc_lo
	s_wait_dscnt 0x3
	global_store_b128 v[20:21], v[0:3], off
	s_wait_dscnt 0x2
	global_store_b128 v[18:19], v[4:7], off
	;; [unrolled: 2-line block ×4, first 2 shown]
	ds_load_b128 v[0:3], v36 offset:8448
	ds_load_b128 v[4:7], v36 offset:9504
	v_lshlrev_b64_e32 v[18:19], 4, v[12:13]
	v_add_nc_u32_e32 v12, 0x294, v90
	ds_load_b128 v[8:11], v36 offset:10560
	ds_load_b128 v[14:17], v36 offset:11616
	v_add_co_u32 v20, vcc_lo, v37, v26
	s_wait_alu 0xfffd
	v_add_co_ci_u32_e32 v21, vcc_lo, v38, v27, vcc_lo
	v_lshlrev_b64_e32 v[22:23], 4, v[12:13]
	v_add_nc_u32_e32 v12, 0x2d6, v90
	v_add_co_u32 v18, vcc_lo, v37, v18
	s_wait_alu 0xfffd
	v_add_co_ci_u32_e32 v19, vcc_lo, v38, v19, vcc_lo
	s_delay_alu instid0(VALU_DEP_3) | instskip(SKIP_4) | instid1(VALU_DEP_3)
	v_lshlrev_b64_e32 v[24:25], 4, v[12:13]
	v_add_nc_u32_e32 v12, 0x318, v90
	v_add_co_u32 v22, vcc_lo, v37, v22
	s_wait_alu 0xfffd
	v_add_co_ci_u32_e32 v23, vcc_lo, v38, v23, vcc_lo
	v_lshlrev_b64_e32 v[26:27], 4, v[12:13]
	v_add_nc_u32_e32 v12, 0x35a, v90
	v_add_co_u32 v24, vcc_lo, v37, v24
	s_wait_alu 0xfffd
	v_add_co_ci_u32_e32 v25, vcc_lo, v38, v25, vcc_lo
	s_wait_dscnt 0x3
	global_store_b128 v[20:21], v[0:3], off
	s_wait_dscnt 0x2
	global_store_b128 v[18:19], v[4:7], off
	;; [unrolled: 2-line block ×4, first 2 shown]
	v_lshlrev_b64_e32 v[8:9], 4, v[12:13]
	v_add_nc_u32_e32 v12, 0x39c, v90
	v_add_co_u32 v26, vcc_lo, v37, v26
	s_wait_alu 0xfffd
	v_add_co_ci_u32_e32 v27, vcc_lo, v38, v27, vcc_lo
	s_delay_alu instid0(VALU_DEP_3) | instskip(SKIP_4) | instid1(VALU_DEP_4)
	v_lshlrev_b64_e32 v[10:11], 4, v[12:13]
	v_add_co_u32 v28, vcc_lo, v37, v8
	v_add_nc_u32_e32 v12, 0x3de, v90
	s_wait_alu 0xfffd
	v_add_co_ci_u32_e32 v29, vcc_lo, v38, v9, vcc_lo
	v_add_co_u32 v32, vcc_lo, v37, v10
	ds_load_b128 v[0:3], v36 offset:12672
	ds_load_b128 v[4:7], v36 offset:13728
	s_wait_alu 0xfffd
	v_add_co_ci_u32_e32 v33, vcc_lo, v38, v11, vcc_lo
	ds_load_b128 v[8:11], v36 offset:14784
	ds_load_b128 v[14:17], v36 offset:15840
	;; [unrolled: 1-line block ×4, first 2 shown]
	v_lshlrev_b64_e32 v[30:31], 4, v[12:13]
	v_add_nc_u32_e32 v12, 0x420, v90
	s_delay_alu instid0(VALU_DEP_1) | instskip(SKIP_1) | instid1(VALU_DEP_4)
	v_lshlrev_b64_e32 v[34:35], 4, v[12:13]
	v_add_nc_u32_e32 v12, 0x462, v90
	v_add_co_u32 v30, vcc_lo, v37, v30
	s_wait_alu 0xfffd
	v_add_co_ci_u32_e32 v31, vcc_lo, v38, v31, vcc_lo
	s_delay_alu instid0(VALU_DEP_3) | instskip(SKIP_3) | instid1(VALU_DEP_3)
	v_lshlrev_b64_e32 v[12:13], 4, v[12:13]
	v_add_co_u32 v34, vcc_lo, v37, v34
	s_wait_alu 0xfffd
	v_add_co_ci_u32_e32 v35, vcc_lo, v38, v35, vcc_lo
	v_add_co_u32 v12, vcc_lo, v37, v12
	s_wait_alu 0xfffd
	v_add_co_ci_u32_e32 v13, vcc_lo, v38, v13, vcc_lo
	s_wait_dscnt 0x5
	global_store_b128 v[26:27], v[0:3], off
	s_wait_dscnt 0x4
	global_store_b128 v[28:29], v[4:7], off
	;; [unrolled: 2-line block ×6, first 2 shown]
.LBB0_24:
	s_nop 0
	s_sendmsg sendmsg(MSG_DEALLOC_VGPRS)
	s_endpgm
	.section	.rodata,"a",@progbits
	.p2align	6, 0x0
	.amdhsa_kernel fft_rtc_back_len1188_factors_6_11_2_3_3_wgs_198_tpt_66_halfLds_dp_op_CI_CI_unitstride_sbrr_C2R_dirReg
		.amdhsa_group_segment_fixed_size 0
		.amdhsa_private_segment_fixed_size 0
		.amdhsa_kernarg_size 104
		.amdhsa_user_sgpr_count 2
		.amdhsa_user_sgpr_dispatch_ptr 0
		.amdhsa_user_sgpr_queue_ptr 0
		.amdhsa_user_sgpr_kernarg_segment_ptr 1
		.amdhsa_user_sgpr_dispatch_id 0
		.amdhsa_user_sgpr_private_segment_size 0
		.amdhsa_wavefront_size32 1
		.amdhsa_uses_dynamic_stack 0
		.amdhsa_enable_private_segment 0
		.amdhsa_system_sgpr_workgroup_id_x 1
		.amdhsa_system_sgpr_workgroup_id_y 0
		.amdhsa_system_sgpr_workgroup_id_z 0
		.amdhsa_system_sgpr_workgroup_info 0
		.amdhsa_system_vgpr_workitem_id 0
		.amdhsa_next_free_vgpr 253
		.amdhsa_next_free_sgpr 40
		.amdhsa_reserve_vcc 1
		.amdhsa_float_round_mode_32 0
		.amdhsa_float_round_mode_16_64 0
		.amdhsa_float_denorm_mode_32 3
		.amdhsa_float_denorm_mode_16_64 3
		.amdhsa_fp16_overflow 0
		.amdhsa_workgroup_processor_mode 1
		.amdhsa_memory_ordered 1
		.amdhsa_forward_progress 0
		.amdhsa_round_robin_scheduling 0
		.amdhsa_exception_fp_ieee_invalid_op 0
		.amdhsa_exception_fp_denorm_src 0
		.amdhsa_exception_fp_ieee_div_zero 0
		.amdhsa_exception_fp_ieee_overflow 0
		.amdhsa_exception_fp_ieee_underflow 0
		.amdhsa_exception_fp_ieee_inexact 0
		.amdhsa_exception_int_div_zero 0
	.end_amdhsa_kernel
	.text
.Lfunc_end0:
	.size	fft_rtc_back_len1188_factors_6_11_2_3_3_wgs_198_tpt_66_halfLds_dp_op_CI_CI_unitstride_sbrr_C2R_dirReg, .Lfunc_end0-fft_rtc_back_len1188_factors_6_11_2_3_3_wgs_198_tpt_66_halfLds_dp_op_CI_CI_unitstride_sbrr_C2R_dirReg
                                        ; -- End function
	.section	.AMDGPU.csdata,"",@progbits
; Kernel info:
; codeLenInByte = 15576
; NumSgprs: 42
; NumVgprs: 253
; ScratchSize: 0
; MemoryBound: 0
; FloatMode: 240
; IeeeMode: 1
; LDSByteSize: 0 bytes/workgroup (compile time only)
; SGPRBlocks: 5
; VGPRBlocks: 31
; NumSGPRsForWavesPerEU: 42
; NumVGPRsForWavesPerEU: 253
; Occupancy: 5
; WaveLimiterHint : 1
; COMPUTE_PGM_RSRC2:SCRATCH_EN: 0
; COMPUTE_PGM_RSRC2:USER_SGPR: 2
; COMPUTE_PGM_RSRC2:TRAP_HANDLER: 0
; COMPUTE_PGM_RSRC2:TGID_X_EN: 1
; COMPUTE_PGM_RSRC2:TGID_Y_EN: 0
; COMPUTE_PGM_RSRC2:TGID_Z_EN: 0
; COMPUTE_PGM_RSRC2:TIDIG_COMP_CNT: 0
	.text
	.p2alignl 7, 3214868480
	.fill 96, 4, 3214868480
	.type	__hip_cuid_8b7f5863759b2da6,@object ; @__hip_cuid_8b7f5863759b2da6
	.section	.bss,"aw",@nobits
	.globl	__hip_cuid_8b7f5863759b2da6
__hip_cuid_8b7f5863759b2da6:
	.byte	0                               ; 0x0
	.size	__hip_cuid_8b7f5863759b2da6, 1

	.ident	"AMD clang version 19.0.0git (https://github.com/RadeonOpenCompute/llvm-project roc-6.4.0 25133 c7fe45cf4b819c5991fe208aaa96edf142730f1d)"
	.section	".note.GNU-stack","",@progbits
	.addrsig
	.addrsig_sym __hip_cuid_8b7f5863759b2da6
	.amdgpu_metadata
---
amdhsa.kernels:
  - .args:
      - .actual_access:  read_only
        .address_space:  global
        .offset:         0
        .size:           8
        .value_kind:     global_buffer
      - .offset:         8
        .size:           8
        .value_kind:     by_value
      - .actual_access:  read_only
        .address_space:  global
        .offset:         16
        .size:           8
        .value_kind:     global_buffer
      - .actual_access:  read_only
        .address_space:  global
        .offset:         24
        .size:           8
        .value_kind:     global_buffer
      - .actual_access:  read_only
        .address_space:  global
        .offset:         32
        .size:           8
        .value_kind:     global_buffer
      - .offset:         40
        .size:           8
        .value_kind:     by_value
      - .actual_access:  read_only
        .address_space:  global
        .offset:         48
        .size:           8
        .value_kind:     global_buffer
      - .actual_access:  read_only
        .address_space:  global
        .offset:         56
        .size:           8
        .value_kind:     global_buffer
      - .offset:         64
        .size:           4
        .value_kind:     by_value
      - .actual_access:  read_only
        .address_space:  global
        .offset:         72
        .size:           8
        .value_kind:     global_buffer
      - .actual_access:  read_only
        .address_space:  global
        .offset:         80
        .size:           8
        .value_kind:     global_buffer
      - .actual_access:  read_only
        .address_space:  global
        .offset:         88
        .size:           8
        .value_kind:     global_buffer
      - .actual_access:  write_only
        .address_space:  global
        .offset:         96
        .size:           8
        .value_kind:     global_buffer
    .group_segment_fixed_size: 0
    .kernarg_segment_align: 8
    .kernarg_segment_size: 104
    .language:       OpenCL C
    .language_version:
      - 2
      - 0
    .max_flat_workgroup_size: 198
    .name:           fft_rtc_back_len1188_factors_6_11_2_3_3_wgs_198_tpt_66_halfLds_dp_op_CI_CI_unitstride_sbrr_C2R_dirReg
    .private_segment_fixed_size: 0
    .sgpr_count:     42
    .sgpr_spill_count: 0
    .symbol:         fft_rtc_back_len1188_factors_6_11_2_3_3_wgs_198_tpt_66_halfLds_dp_op_CI_CI_unitstride_sbrr_C2R_dirReg.kd
    .uniform_work_group_size: 1
    .uses_dynamic_stack: false
    .vgpr_count:     253
    .vgpr_spill_count: 0
    .wavefront_size: 32
    .workgroup_processor_mode: 1
amdhsa.target:   amdgcn-amd-amdhsa--gfx1201
amdhsa.version:
  - 1
  - 2
...

	.end_amdgpu_metadata
